;; amdgpu-corpus repo=zjin-lcf/HeCBench kind=compiled arch=gfx906 opt=O3
	.amdgcn_target "amdgcn-amd-amdhsa--gfx906"
	.amdhsa_code_object_version 6
	.text
	.protected	_Z7set_BCsPdS_          ; -- Begin function _Z7set_BCsPdS_
	.globl	_Z7set_BCsPdS_
	.p2align	8
	.type	_Z7set_BCsPdS_,@function
_Z7set_BCsPdS_:                         ; @_Z7set_BCsPdS_
; %bb.0:
	s_load_dword s0, s[4:5], 0x1c
	s_load_dwordx4 s[8:11], s[4:5], 0x0
	s_mov_b32 s2, 0
	s_mov_b32 s3, s2
	v_mov_b32_e32 v7, s3
	s_waitcnt lgkmcnt(0)
	s_and_b32 s0, s0, 0xffff
	s_mul_i32 s6, s6, s0
	v_add_u32_e32 v2, s6, v0
	v_add_u32_e32 v0, 0x203, v2
	v_ashrrev_i32_e32 v1, 31, v0
	v_lshlrev_b64 v[0:1], 3, v[0:1]
	v_mov_b32_e32 v18, s11
	v_add_co_u32_e32 v0, vcc, s10, v0
	v_addc_co_u32_e32 v1, vcc, v18, v1, vcc
	global_load_dwordx2 v[4:5], v[0:1], off
	v_ashrrev_i32_e32 v3, 31, v2
	v_lshlrev_b64 v[8:9], 3, v[2:3]
	v_mov_b32_e32 v14, s9
	v_add_u32_e32 v0, 0x40401, v2
	v_add_co_u32_e32 v11, vcc, s8, v8
	v_ashrrev_i32_e32 v1, 31, v0
	v_addc_co_u32_e32 v12, vcc, v14, v9, vcc
	s_movk_i32 s0, 0x202
	v_add_u32_e32 v19, 1, v2
	v_lshlrev_b64 v[0:1], 3, v[0:1]
	v_add_co_u32_e32 v8, vcc, s10, v8
	v_mov_b32_e32 v6, s2
	v_mul_lo_u32 v10, v19, s0
	v_addc_co_u32_e32 v9, vcc, v18, v9, vcc
	global_store_dwordx2 v[11:12], v[6:7], off offset:8
	v_add_co_u32_e32 v11, vcc, s8, v0
	v_addc_co_u32_e32 v12, vcc, v14, v1, vcc
	v_add_co_u32_e32 v0, vcc, s10, v0
	v_addc_co_u32_e32 v1, vcc, v18, v1, vcc
	global_store_dwordx2 v[11:12], v[6:7], off
	v_ashrrev_i32_e32 v11, 31, v10
	global_load_dwordx2 v[12:13], v[0:1], off
	v_lshlrev_b64 v[0:1], 3, v[10:11]
	s_movk_i32 s1, 0x1000
	v_add_co_u32_e32 v10, vcc, s8, v0
	v_addc_co_u32_e32 v11, vcc, v14, v1, vcc
	v_add_co_u32_e32 v14, vcc, s1, v10
	v_addc_co_u32_e32 v15, vcc, 0, v11, vcc
	global_load_dwordx2 v[16:17], v[14:15], off
	v_add_u32_e32 v2, 0x40603, v2
	v_ashrrev_i32_e32 v3, 31, v2
	v_lshlrev_b64 v[2:3], 3, v[2:3]
	s_movk_i32 s4, 0x200
	s_waitcnt vmcnt(4)
	v_xor_b32_e32 v5, 0x80000000, v5
	global_store_dwordx2 v[8:9], v[4:5], off offset:8
	global_load_dwordx2 v[4:5], v[10:11], off offset:8
	v_add_co_u32_e32 v8, vcc, s10, v2
	v_addc_co_u32_e32 v9, vcc, v18, v3, vcc
	v_add_co_u32_e64 v2, s[0:1], s10, v0
	v_addc_co_u32_e64 v3, vcc, v18, v1, s[0:1]
	s_waitcnt vmcnt(3)
	v_xor_b32_e32 v13, 0x80000000, v13
	global_store_dwordx2 v[8:9], v[12:13], off
	v_add_co_u32_e32 v8, vcc, 0x1000, v2
	v_addc_co_u32_e32 v9, vcc, 0, v3, vcc
	v_cmp_eq_u32_e32 vcc, s4, v19
	global_store_dwordx2 v[2:3], v[6:7], off
	global_store_dwordx2 v[8:9], v[6:7], off
	s_waitcnt vmcnt(5)
	v_add_f64 v[12:13], -v[16:17], 2.0
	s_waitcnt vmcnt(3)
	v_xor_b32_e32 v5, 0x80000000, v5
	global_store_dwordx2 v[10:11], v[4:5], off
	global_store_dwordx2 v[14:15], v[12:13], off offset:8
	s_and_saveexec_b64 s[4:5], vcc
	s_cbranch_execz .LBB0_2
; %bb.1:
	v_mov_b32_e32 v17, 0x203000
	global_load_dwordx2 v[7:8], v17, s[10:11] offset:8
	v_mov_b32_e32 v10, s3
	v_mov_b32_e32 v0, 0x202000
	;; [unrolled: 1-line block ×8, first 2 shown]
	global_store_dwordx2 v0, v[9:10], s[8:9]
	global_load_dwordx2 v[11:12], v3, s[8:9] offset:8
	v_addc_co_u32_e64 v16, vcc, v5, v1, s[0:1]
	global_load_dwordx2 v[0:1], v4, s[10:11] offset:24
	global_load_dwordx2 v[5:6], v17, s[8:9] offset:24
	;; [unrolled: 1-line block ×3, first 2 shown]
	v_add_co_u32_e32 v15, vcc, 0x1000, v2
	v_mov_b32_e32 v4, v3
	global_store_dwordx2 v3, v[9:10], s[10:11]
	global_store_dwordx2 v17, v[9:10], s[10:11] offset:16
	v_addc_co_u32_e32 v16, vcc, 0, v16, vcc
	s_waitcnt vmcnt(7)
	v_xor_b32_e32 v8, 0x80000000, v8
	global_store_dwordx2 v18, v[7:8], s[10:11] offset:24
	global_load_dwordx2 v[7:8], v19, s[8:9]
	s_waitcnt vmcnt(7)
	v_xor_b32_e32 v12, 0x80000000, v12
	s_waitcnt vmcnt(6)
	v_xor_b32_e32 v20, 0x80000000, v1
	;; [unrolled: 2-line block ×3, first 2 shown]
	global_store_dwordx2 v3, v[11:12], s[8:9]
	global_store_dwordx4 v17, v[3:6], s[8:9] offset:8
	s_waitcnt vmcnt(2)
	v_add_f64 v[1:2], -v[7:8], 2.0
	v_add_f64 v[7:8], -v[13:14], 2.0
	v_mov_b32_e32 v5, v0
	v_mov_b32_e32 v6, v20
	global_store_dwordx4 v19, v[3:6], s[10:11]
	global_store_dwordx2 v19, v[1:2], s[8:9] offset:8
	global_store_dwordx2 v18, v[7:8], s[8:9] offset:24
	global_store_dwordx2 v[15:16], v[9:10], off offset:8
.LBB0_2:
	s_endpgm
	.section	.rodata,"a",@progbits
	.p2align	6, 0x0
	.amdhsa_kernel _Z7set_BCsPdS_
		.amdhsa_group_segment_fixed_size 0
		.amdhsa_private_segment_fixed_size 0
		.amdhsa_kernarg_size 272
		.amdhsa_user_sgpr_count 6
		.amdhsa_user_sgpr_private_segment_buffer 1
		.amdhsa_user_sgpr_dispatch_ptr 0
		.amdhsa_user_sgpr_queue_ptr 0
		.amdhsa_user_sgpr_kernarg_segment_ptr 1
		.amdhsa_user_sgpr_dispatch_id 0
		.amdhsa_user_sgpr_flat_scratch_init 0
		.amdhsa_user_sgpr_private_segment_size 0
		.amdhsa_uses_dynamic_stack 0
		.amdhsa_system_sgpr_private_segment_wavefront_offset 0
		.amdhsa_system_sgpr_workgroup_id_x 1
		.amdhsa_system_sgpr_workgroup_id_y 0
		.amdhsa_system_sgpr_workgroup_id_z 0
		.amdhsa_system_sgpr_workgroup_info 0
		.amdhsa_system_vgpr_workitem_id 0
		.amdhsa_next_free_vgpr 21
		.amdhsa_next_free_sgpr 12
		.amdhsa_reserve_vcc 1
		.amdhsa_reserve_flat_scratch 0
		.amdhsa_float_round_mode_32 0
		.amdhsa_float_round_mode_16_64 0
		.amdhsa_float_denorm_mode_32 3
		.amdhsa_float_denorm_mode_16_64 3
		.amdhsa_dx10_clamp 1
		.amdhsa_ieee_mode 1
		.amdhsa_fp16_overflow 0
		.amdhsa_exception_fp_ieee_invalid_op 0
		.amdhsa_exception_fp_denorm_src 0
		.amdhsa_exception_fp_ieee_div_zero 0
		.amdhsa_exception_fp_ieee_overflow 0
		.amdhsa_exception_fp_ieee_underflow 0
		.amdhsa_exception_fp_ieee_inexact 0
		.amdhsa_exception_int_div_zero 0
	.end_amdhsa_kernel
	.text
.Lfunc_end0:
	.size	_Z7set_BCsPdS_, .Lfunc_end0-_Z7set_BCsPdS_
                                        ; -- End function
	.set _Z7set_BCsPdS_.num_vgpr, 21
	.set _Z7set_BCsPdS_.num_agpr, 0
	.set _Z7set_BCsPdS_.numbered_sgpr, 12
	.set _Z7set_BCsPdS_.num_named_barrier, 0
	.set _Z7set_BCsPdS_.private_seg_size, 0
	.set _Z7set_BCsPdS_.uses_vcc, 1
	.set _Z7set_BCsPdS_.uses_flat_scratch, 0
	.set _Z7set_BCsPdS_.has_dyn_sized_stack, 0
	.set _Z7set_BCsPdS_.has_recursion, 0
	.set _Z7set_BCsPdS_.has_indirect_call, 0
	.section	.AMDGPU.csdata,"",@progbits
; Kernel info:
; codeLenInByte = 704
; TotalNumSgprs: 16
; NumVgprs: 21
; ScratchSize: 0
; MemoryBound: 1
; FloatMode: 240
; IeeeMode: 1
; LDSByteSize: 0 bytes/workgroup (compile time only)
; SGPRBlocks: 1
; VGPRBlocks: 5
; NumSGPRsForWavesPerEU: 16
; NumVGPRsForWavesPerEU: 21
; Occupancy: 10
; WaveLimiterHint : 1
; COMPUTE_PGM_RSRC2:SCRATCH_EN: 0
; COMPUTE_PGM_RSRC2:USER_SGPR: 6
; COMPUTE_PGM_RSRC2:TRAP_HANDLER: 0
; COMPUTE_PGM_RSRC2:TGID_X_EN: 1
; COMPUTE_PGM_RSRC2:TGID_Y_EN: 0
; COMPUTE_PGM_RSRC2:TGID_Z_EN: 0
; COMPUTE_PGM_RSRC2:TIDIG_COMP_CNT: 0
	.text
	.protected	_Z11calculate_FdPKdS0_Pd ; -- Begin function _Z11calculate_FdPKdS0_Pd
	.globl	_Z11calculate_FdPKdS0_Pd
	.p2align	8
	.type	_Z11calculate_FdPKdS0_Pd,@function
_Z11calculate_FdPKdS0_Pd:               ; @_Z11calculate_FdPKdS0_Pd
; %bb.0:
	s_load_dword s8, s[4:5], 0x2c
	s_load_dwordx2 s[2:3], s[4:5], 0x8
	s_load_dwordx2 s[0:1], s[4:5], 0x18
                                        ; implicit-def: $vgpr3_vgpr4
	s_waitcnt lgkmcnt(0)
	s_lshr_b32 s9, s8, 16
	s_and_b32 s8, s8, 0xffff
	s_mul_i32 s7, s7, s9
	s_mul_i32 s6, s6, s8
	v_add_u32_e32 v10, s7, v1
	v_add_u32_e32 v2, s6, v0
	;; [unrolled: 1-line block ×3, first 2 shown]
	s_movk_i32 s6, 0x200
	v_cmp_ne_u32_e32 vcc, s6, v5
                                        ; implicit-def: $vgpr0_vgpr1
	s_and_saveexec_b64 s[6:7], vcc
	s_xor_b64 s[6:7], exec, s[6:7]
	s_cbranch_execz .LBB1_2
; %bb.1:
	s_movk_i32 s10, 0x202
	v_mul_lo_u32 v5, v5, s10
	v_add_u32_e32 v9, 1, v2
	s_load_dwordx2 s[8:9], s[4:5], 0x10
	v_mov_b32_e32 v4, s3
	v_add_u32_e32 v0, v5, v9
	v_ashrrev_i32_e32 v1, 31, v0
	v_add_u32_e32 v11, v5, v2
	v_lshlrev_b64 v[7:8], 3, v[0:1]
	v_add_u32_e32 v5, 2, v11
	v_ashrrev_i32_e32 v6, 31, v5
	v_add_co_u32_e32 v3, vcc, s2, v7
	v_lshlrev_b64 v[5:6], 3, v[5:6]
	v_addc_co_u32_e32 v4, vcc, v4, v8, vcc
	v_mov_b32_e32 v12, s3
	v_add_co_u32_e32 v5, vcc, s2, v5
	v_addc_co_u32_e32 v6, vcc, v12, v6, vcc
	v_ashrrev_i32_e32 v12, 31, v11
	v_lshlrev_b64 v[11:12], 3, v[11:12]
	s_waitcnt lgkmcnt(0)
	v_mov_b32_e32 v13, s9
	v_add_co_u32_e32 v7, vcc, s8, v7
	v_mul_lo_u32 v25, v10, s10
	v_addc_co_u32_e32 v8, vcc, v13, v8, vcc
	v_mov_b32_e32 v14, s3
	v_add_co_u32_e32 v13, vcc, s2, v11
	v_addc_co_u32_e32 v14, vcc, v14, v12, vcc
	v_mov_b32_e32 v15, s9
	v_add_co_u32_e32 v11, vcc, s8, v11
	v_add_u32_e32 v10, 0x404, v25
	v_addc_co_u32_e32 v12, vcc, v15, v12, vcc
	v_add_u32_e32 v15, v10, v2
	v_ashrrev_i32_e32 v16, 31, v15
	v_lshlrev_b64 v[15:16], 3, v[15:16]
	v_add_u32_e32 v17, v10, v9
	v_ashrrev_i32_e32 v18, 31, v17
	v_mov_b32_e32 v2, s9
	v_add_co_u32_e32 v15, vcc, s8, v15
	v_lshlrev_b64 v[17:18], 3, v[17:18]
	v_addc_co_u32_e32 v16, vcc, v2, v16, vcc
	v_add_co_u32_e32 v19, vcc, s8, v17
	v_addc_co_u32_e32 v20, vcc, v2, v18, vcc
	global_load_dwordx2 v[21:22], v[7:8], off
	global_load_dwordx2 v[23:24], v[19:20], off
	s_mov_b32 s8, 0
	s_mov_b32 s9, 0x41100000
	s_load_dwordx2 s[4:5], s[4:5], 0x0
	s_waitcnt vmcnt(0)
	v_add_f64 v[19:20], v[21:22], v[23:24]
	global_load_dwordx2 v[7:8], v[11:12], off
	global_load_dwordx2 v[21:22], v[15:16], off
	s_waitcnt vmcnt(0)
	v_add_f64 v[10:11], v[7:8], v[21:22]
	global_load_dwordx2 v[7:8], v[3:4], off
	global_load_dwordx2 v[15:16], v[13:14], off
	s_waitcnt vmcnt(0)
	v_add_f64 v[2:3], v[7:8], v[15:16]
	global_load_dwordx2 v[4:5], v[5:6], off
	v_add_f64 v[12:13], v[15:16], -v[7:8]
	v_mov_b32_e32 v6, s3
	v_mul_f64 v[2:3], v[2:3], v[10:11]
	v_mul_f64 v[10:11], v[12:13], |v[10:11]|
	s_waitcnt vmcnt(0)
	v_add_f64 v[12:13], v[7:8], v[4:5]
	v_fma_f64 v[2:3], v[12:13], v[19:20], -v[2:3]
	v_add_f64 v[12:13], v[7:8], -v[4:5]
	v_fma_f64 v[4:5], v[7:8], -2.0, v[4:5]
	v_fma_f64 v[10:11], v[12:13], |v[19:20]|, -v[10:11]
	v_add_u32_e32 v12, v25, v9
	v_ashrrev_i32_e32 v13, 31, v12
	v_lshlrev_b64 v[12:13], 3, v[12:13]
	v_add_f64 v[4:5], v[4:5], v[15:16]
	v_add_co_u32_e32 v12, vcc, s2, v12
	v_addc_co_u32_e32 v13, vcc, v6, v13, vcc
	v_add_co_u32_e32 v17, vcc, s2, v17
	v_addc_co_u32_e32 v18, vcc, v6, v18, vcc
	global_load_dwordx2 v[19:20], v[17:18], off
	global_load_dwordx2 v[21:22], v[12:13], off
	v_ldexp_f64 v[4:5], v[4:5], 18
	s_waitcnt vmcnt(1)
	v_fma_f64 v[12:13], v[7:8], -2.0, v[19:20]
	s_waitcnt vmcnt(0)
	v_add_f64 v[12:13], v[12:13], v[21:22]
	v_fma_f64 v[4:5], v[12:13], s[8:9], v[4:5]
	s_mov_b32 s8, 0
	s_mov_b32 s9, 0x408f4000
	v_div_scale_f64 v[12:13], s[10:11], s[8:9], s[8:9], v[4:5]
	s_mov_b32 s10, 0xcccccccd
	s_mov_b32 s11, 0x3feccccc
	v_fma_f64 v[2:3], v[10:11], s[10:11], v[2:3]
	v_rcp_f64_e32 v[14:15], v[12:13]
	v_fma_f64 v[16:17], -v[12:13], v[14:15], 1.0
	v_fma_f64 v[14:15], v[14:15], v[16:17], v[14:15]
	v_fma_f64 v[16:17], -v[12:13], v[14:15], 1.0
	v_fma_f64 v[14:15], v[14:15], v[16:17], v[14:15]
	v_div_scale_f64 v[16:17], vcc, v[4:5], s[8:9], v[4:5]
	v_mul_f64 v[23:24], v[16:17], v[14:15]
	v_fma_f64 v[12:13], -v[12:13], v[23:24], v[16:17]
	v_add_f64 v[16:17], v[21:22], -v[7:8]
	s_nop 0
	v_div_fmas_f64 v[12:13], v[12:13], v[14:15], v[23:24]
	v_add_f64 v[14:15], v[7:8], v[21:22]
	v_add_f64 v[21:22], v[7:8], v[19:20]
	v_add_f64 v[18:19], v[7:8], -v[19:20]
	v_mul_f64 v[16:17], v[16:17], |v[14:15]|
	v_mul_f64 v[14:15], v[14:15], v[14:15]
	v_div_fixup_f64 v[4:5], v[12:13], s[8:9], v[4:5]
	v_fma_f64 v[16:17], v[18:19], |v[21:22]|, -v[16:17]
	v_fma_f64 v[14:15], v[21:22], v[21:22], -v[14:15]
	s_mov_b32 s8, 0
	s_mov_b32 s9, 0xc0600000
	v_fma_f64 v[14:15], v[16:17], s[10:11], v[14:15]
	v_fma_f64 v[4:5], v[14:15], s[8:9], v[4:5]
	v_fma_f64 v[2:3], v[2:3], s[8:9], v[4:5]
	v_add_f64 v[2:3], v[2:3], 0
	s_waitcnt lgkmcnt(0)
	v_fma_f64 v[3:4], s[4:5], v[2:3], v[7:8]
                                        ; implicit-def: $vgpr2
.LBB1_2:
	s_andn2_saveexec_b64 s[4:5], s[6:7]
	s_cbranch_execz .LBB1_4
; %bb.3:
	v_ashrrev_i32_e32 v3, 31, v2
	v_lshlrev_b64 v[5:6], 3, v[2:3]
	v_mov_b32_e32 v0, s3
	v_add_co_u32_e32 v7, vcc, s2, v5
	v_addc_co_u32_e32 v8, vcc, v0, v6, vcc
	v_add_u32_e32 v0, 0x40401, v2
	v_ashrrev_i32_e32 v1, 31, v0
	v_lshlrev_b64 v[2:3], 3, v[0:1]
	v_mov_b32_e32 v4, s3
	v_add_co_u32_e32 v9, vcc, s2, v2
	v_addc_co_u32_e32 v10, vcc, v4, v3, vcc
	global_load_dwordx2 v[11:12], v[7:8], off offset:8
	global_load_dwordx2 v[3:4], v[9:10], off
	v_mov_b32_e32 v2, s1
	v_add_co_u32_e32 v5, vcc, s0, v5
	v_addc_co_u32_e32 v6, vcc, v2, v6, vcc
	s_waitcnt vmcnt(1)
	global_store_dwordx2 v[5:6], v[11:12], off offset:8
.LBB1_4:
	s_or_b64 exec, exec, s[4:5]
	v_lshlrev_b64 v[0:1], 3, v[0:1]
	v_mov_b32_e32 v2, s1
	v_add_co_u32_e32 v0, vcc, s0, v0
	v_addc_co_u32_e32 v1, vcc, v2, v1, vcc
	s_waitcnt vmcnt(1)
	global_store_dwordx2 v[0:1], v[3:4], off
	s_endpgm
	.section	.rodata,"a",@progbits
	.p2align	6, 0x0
	.amdhsa_kernel _Z11calculate_FdPKdS0_Pd
		.amdhsa_group_segment_fixed_size 0
		.amdhsa_private_segment_fixed_size 0
		.amdhsa_kernarg_size 288
		.amdhsa_user_sgpr_count 6
		.amdhsa_user_sgpr_private_segment_buffer 1
		.amdhsa_user_sgpr_dispatch_ptr 0
		.amdhsa_user_sgpr_queue_ptr 0
		.amdhsa_user_sgpr_kernarg_segment_ptr 1
		.amdhsa_user_sgpr_dispatch_id 0
		.amdhsa_user_sgpr_flat_scratch_init 0
		.amdhsa_user_sgpr_private_segment_size 0
		.amdhsa_uses_dynamic_stack 0
		.amdhsa_system_sgpr_private_segment_wavefront_offset 0
		.amdhsa_system_sgpr_workgroup_id_x 1
		.amdhsa_system_sgpr_workgroup_id_y 1
		.amdhsa_system_sgpr_workgroup_id_z 0
		.amdhsa_system_sgpr_workgroup_info 0
		.amdhsa_system_vgpr_workitem_id 1
		.amdhsa_next_free_vgpr 26
		.amdhsa_next_free_sgpr 12
		.amdhsa_reserve_vcc 1
		.amdhsa_reserve_flat_scratch 0
		.amdhsa_float_round_mode_32 0
		.amdhsa_float_round_mode_16_64 0
		.amdhsa_float_denorm_mode_32 3
		.amdhsa_float_denorm_mode_16_64 3
		.amdhsa_dx10_clamp 1
		.amdhsa_ieee_mode 1
		.amdhsa_fp16_overflow 0
		.amdhsa_exception_fp_ieee_invalid_op 0
		.amdhsa_exception_fp_denorm_src 0
		.amdhsa_exception_fp_ieee_div_zero 0
		.amdhsa_exception_fp_ieee_overflow 0
		.amdhsa_exception_fp_ieee_underflow 0
		.amdhsa_exception_fp_ieee_inexact 0
		.amdhsa_exception_int_div_zero 0
	.end_amdhsa_kernel
	.text
.Lfunc_end1:
	.size	_Z11calculate_FdPKdS0_Pd, .Lfunc_end1-_Z11calculate_FdPKdS0_Pd
                                        ; -- End function
	.set _Z11calculate_FdPKdS0_Pd.num_vgpr, 26
	.set _Z11calculate_FdPKdS0_Pd.num_agpr, 0
	.set _Z11calculate_FdPKdS0_Pd.numbered_sgpr, 12
	.set _Z11calculate_FdPKdS0_Pd.num_named_barrier, 0
	.set _Z11calculate_FdPKdS0_Pd.private_seg_size, 0
	.set _Z11calculate_FdPKdS0_Pd.uses_vcc, 1
	.set _Z11calculate_FdPKdS0_Pd.uses_flat_scratch, 0
	.set _Z11calculate_FdPKdS0_Pd.has_dyn_sized_stack, 0
	.set _Z11calculate_FdPKdS0_Pd.has_recursion, 0
	.set _Z11calculate_FdPKdS0_Pd.has_indirect_call, 0
	.section	.AMDGPU.csdata,"",@progbits
; Kernel info:
; codeLenInByte = 952
; TotalNumSgprs: 16
; NumVgprs: 26
; ScratchSize: 0
; MemoryBound: 0
; FloatMode: 240
; IeeeMode: 1
; LDSByteSize: 0 bytes/workgroup (compile time only)
; SGPRBlocks: 1
; VGPRBlocks: 6
; NumSGPRsForWavesPerEU: 16
; NumVGPRsForWavesPerEU: 26
; Occupancy: 9
; WaveLimiterHint : 0
; COMPUTE_PGM_RSRC2:SCRATCH_EN: 0
; COMPUTE_PGM_RSRC2:USER_SGPR: 6
; COMPUTE_PGM_RSRC2:TRAP_HANDLER: 0
; COMPUTE_PGM_RSRC2:TGID_X_EN: 1
; COMPUTE_PGM_RSRC2:TGID_Y_EN: 1
; COMPUTE_PGM_RSRC2:TGID_Z_EN: 0
; COMPUTE_PGM_RSRC2:TIDIG_COMP_CNT: 1
	.text
	.protected	_Z11calculate_GdPKdS0_Pd ; -- Begin function _Z11calculate_GdPKdS0_Pd
	.globl	_Z11calculate_GdPKdS0_Pd
	.p2align	8
	.type	_Z11calculate_GdPKdS0_Pd,@function
_Z11calculate_GdPKdS0_Pd:               ; @_Z11calculate_GdPKdS0_Pd
; %bb.0:
	s_load_dword s8, s[4:5], 0x2c
	s_load_dwordx4 s[0:3], s[4:5], 0x10
                                        ; implicit-def: $vgpr3_vgpr4
	s_waitcnt lgkmcnt(0)
	s_lshr_b32 s9, s8, 16
	s_and_b32 s8, s8, 0xffff
	s_mul_i32 s6, s6, s8
	s_mul_i32 s7, s7, s9
	v_add_u32_e32 v9, s6, v0
	v_add_u32_e32 v0, s7, v1
	s_movk_i32 s6, 0x202
	v_mul_lo_u32 v10, v0, s6
	v_add_u32_e32 v7, 1, v9
	s_movk_i32 s6, 0x200
	v_cmp_ne_u32_e32 vcc, s6, v7
	v_add_u32_e32 v2, 0x202, v10
                                        ; implicit-def: $vgpr0_vgpr1
	s_and_saveexec_b64 s[6:7], vcc
	s_xor_b64 s[6:7], exec, s[6:7]
	s_cbranch_execz .LBB2_2
; %bb.1:
	v_add_u32_e32 v0, v2, v7
	v_ashrrev_i32_e32 v1, 31, v0
	s_movk_i32 s8, 0x405
	v_lshlrev_b64 v[5:6], 3, v[0:1]
	v_add_u32_e32 v3, v10, v7
	v_add3_u32 v11, v9, v10, s8
	v_ashrrev_i32_e32 v4, 31, v3
	v_ashrrev_i32_e32 v12, 31, v11
	s_load_dwordx4 s[8:11], s[4:5], 0x0
	v_lshlrev_b64 v[7:8], 3, v[3:4]
	v_mov_b32_e32 v4, s1
	v_add_co_u32_e32 v3, vcc, s0, v5
	v_lshlrev_b64 v[11:12], 3, v[11:12]
	v_addc_co_u32_e32 v4, vcc, v4, v6, vcc
	v_mov_b32_e32 v13, s1
	v_add_co_u32_e32 v11, vcc, s0, v11
	v_addc_co_u32_e32 v12, vcc, v13, v12, vcc
	s_waitcnt lgkmcnt(0)
	v_mov_b32_e32 v13, s11
	v_add_co_u32_e32 v5, vcc, s10, v5
	v_addc_co_u32_e32 v6, vcc, v13, v6, vcc
	v_mov_b32_e32 v14, s1
	v_add_co_u32_e32 v13, vcc, s0, v7
	v_addc_co_u32_e32 v14, vcc, v14, v8, vcc
	v_mov_b32_e32 v15, s11
	v_add_co_u32_e32 v7, vcc, s10, v7
	v_add_u32_e32 v17, 2, v9
	v_addc_co_u32_e32 v8, vcc, v15, v8, vcc
	v_add_u32_e32 v15, v10, v17
	v_ashrrev_i32_e32 v16, 31, v15
	v_lshlrev_b64 v[15:16], 3, v[15:16]
	v_add_u32_e32 v17, v2, v17
	v_ashrrev_i32_e32 v18, 31, v17
	v_mov_b32_e32 v10, s11
	v_add_co_u32_e32 v15, vcc, s10, v15
	v_lshlrev_b64 v[17:18], 3, v[17:18]
	v_addc_co_u32_e32 v16, vcc, v10, v16, vcc
	v_add_co_u32_e32 v19, vcc, s10, v17
	v_addc_co_u32_e32 v20, vcc, v10, v18, vcc
	global_load_dwordx2 v[21:22], v[5:6], off
	global_load_dwordx2 v[23:24], v[19:20], off
	s_mov_b32 s4, 0
	s_mov_b32 s5, 0x41100000
	s_waitcnt vmcnt(0)
	v_add_f64 v[5:6], v[21:22], v[23:24]
	global_load_dwordx2 v[19:20], v[7:8], off
	global_load_dwordx2 v[21:22], v[15:16], off
	s_waitcnt vmcnt(0)
	v_add_f64 v[7:8], v[19:20], v[21:22]
	global_load_dwordx2 v[15:16], v[3:4], off
	global_load_dwordx2 v[19:20], v[13:14], off
	s_waitcnt vmcnt(0)
	v_add_f64 v[3:4], v[15:16], v[19:20]
	global_load_dwordx2 v[10:11], v[11:12], off
	v_add_f64 v[13:14], v[19:20], -v[15:16]
	v_mul_f64 v[3:4], v[7:8], v[3:4]
	v_mul_f64 v[7:8], |v[7:8]|, v[13:14]
	s_waitcnt vmcnt(0)
	v_add_f64 v[12:13], v[15:16], v[10:11]
	v_fma_f64 v[3:4], v[5:6], v[12:13], -v[3:4]
	v_add_f64 v[12:13], v[15:16], -v[10:11]
	v_fma_f64 v[5:6], |v[5:6]|, v[12:13], -v[7:8]
	v_add_u32_e32 v7, v2, v9
	v_ashrrev_i32_e32 v8, 31, v7
	v_lshlrev_b64 v[7:8], 3, v[7:8]
	v_mov_b32_e32 v2, s1
	v_add_co_u32_e32 v7, vcc, s0, v7
	v_addc_co_u32_e32 v8, vcc, v2, v8, vcc
	v_add_co_u32_e32 v12, vcc, s0, v17
	v_addc_co_u32_e32 v13, vcc, v2, v18, vcc
	global_load_dwordx2 v[17:18], v[12:13], off
	global_load_dwordx2 v[21:22], v[7:8], off
	v_fma_f64 v[7:8], v[15:16], -2.0, v[10:11]
	v_add_f64 v[7:8], v[7:8], v[19:20]
	v_ldexp_f64 v[7:8], v[7:8], 18
	s_waitcnt vmcnt(1)
	v_fma_f64 v[9:10], v[15:16], -2.0, v[17:18]
	s_waitcnt vmcnt(0)
	v_add_f64 v[9:10], v[9:10], v[21:22]
	v_fma_f64 v[7:8], v[9:10], s[4:5], v[7:8]
	s_mov_b32 s4, 0
	s_mov_b32 s5, 0x408f4000
	v_div_scale_f64 v[9:10], s[10:11], s[4:5], s[4:5], v[7:8]
	s_mov_b32 s10, 0xcccccccd
	s_mov_b32 s11, 0x3feccccc
	v_fma_f64 v[2:3], v[5:6], s[10:11], v[3:4]
	v_rcp_f64_e32 v[11:12], v[9:10]
	v_fma_f64 v[13:14], -v[9:10], v[11:12], 1.0
	v_fma_f64 v[11:12], v[11:12], v[13:14], v[11:12]
	v_fma_f64 v[13:14], -v[9:10], v[11:12], 1.0
	v_fma_f64 v[11:12], v[11:12], v[13:14], v[11:12]
	v_div_scale_f64 v[13:14], vcc, v[7:8], s[4:5], v[7:8]
	v_mul_f64 v[19:20], v[13:14], v[11:12]
	v_fma_f64 v[9:10], -v[9:10], v[19:20], v[13:14]
	v_add_f64 v[13:14], v[21:22], -v[15:16]
	s_nop 0
	v_div_fmas_f64 v[9:10], v[9:10], v[11:12], v[19:20]
	v_add_f64 v[11:12], v[15:16], v[21:22]
	v_add_f64 v[19:20], v[15:16], v[17:18]
	v_add_f64 v[17:18], v[15:16], -v[17:18]
	v_mul_f64 v[13:14], v[13:14], |v[11:12]|
	v_mul_f64 v[11:12], v[11:12], v[11:12]
	v_div_fixup_f64 v[7:8], v[9:10], s[4:5], v[7:8]
	v_fma_f64 v[13:14], v[17:18], |v[19:20]|, -v[13:14]
	v_fma_f64 v[11:12], v[19:20], v[19:20], -v[11:12]
	s_mov_b32 s4, 0
	s_mov_b32 s5, 0xc0600000
                                        ; implicit-def: $vgpr10
	v_fma_f64 v[11:12], v[13:14], s[10:11], v[11:12]
	v_fma_f64 v[4:5], v[11:12], s[4:5], v[7:8]
	;; [unrolled: 1-line block ×3, first 2 shown]
	v_add_f64 v[2:3], v[2:3], 0
	v_fma_f64 v[3:4], s[8:9], v[2:3], v[15:16]
                                        ; implicit-def: $vgpr2
.LBB2_2:
	s_andn2_saveexec_b64 s[4:5], s[6:7]
	s_cbranch_execz .LBB2_4
; %bb.3:
	v_ashrrev_i32_e32 v3, 31, v2
	v_lshlrev_b64 v[5:6], 3, v[2:3]
	v_mov_b32_e32 v0, s1
	v_add_co_u32_e32 v7, vcc, s0, v5
	v_addc_co_u32_e32 v8, vcc, v0, v6, vcc
	v_add_u32_e32 v0, 0x402, v10
	v_ashrrev_i32_e32 v1, 31, v0
	v_lshlrev_b64 v[2:3], 3, v[0:1]
	v_mov_b32_e32 v4, s1
	v_add_co_u32_e32 v9, vcc, s0, v2
	v_addc_co_u32_e32 v10, vcc, v4, v3, vcc
	global_load_dwordx2 v[11:12], v[7:8], off
	global_load_dwordx2 v[3:4], v[9:10], off
	v_mov_b32_e32 v2, s3
	v_add_co_u32_e32 v5, vcc, s2, v5
	v_addc_co_u32_e32 v6, vcc, v2, v6, vcc
	s_waitcnt vmcnt(1)
	global_store_dwordx2 v[5:6], v[11:12], off
.LBB2_4:
	s_or_b64 exec, exec, s[4:5]
	v_lshlrev_b64 v[0:1], 3, v[0:1]
	v_mov_b32_e32 v2, s3
	v_add_co_u32_e32 v0, vcc, s2, v0
	v_addc_co_u32_e32 v1, vcc, v2, v1, vcc
	s_waitcnt vmcnt(1)
	global_store_dwordx2 v[0:1], v[3:4], off
	s_endpgm
	.section	.rodata,"a",@progbits
	.p2align	6, 0x0
	.amdhsa_kernel _Z11calculate_GdPKdS0_Pd
		.amdhsa_group_segment_fixed_size 0
		.amdhsa_private_segment_fixed_size 0
		.amdhsa_kernarg_size 288
		.amdhsa_user_sgpr_count 6
		.amdhsa_user_sgpr_private_segment_buffer 1
		.amdhsa_user_sgpr_dispatch_ptr 0
		.amdhsa_user_sgpr_queue_ptr 0
		.amdhsa_user_sgpr_kernarg_segment_ptr 1
		.amdhsa_user_sgpr_dispatch_id 0
		.amdhsa_user_sgpr_flat_scratch_init 0
		.amdhsa_user_sgpr_private_segment_size 0
		.amdhsa_uses_dynamic_stack 0
		.amdhsa_system_sgpr_private_segment_wavefront_offset 0
		.amdhsa_system_sgpr_workgroup_id_x 1
		.amdhsa_system_sgpr_workgroup_id_y 1
		.amdhsa_system_sgpr_workgroup_id_z 0
		.amdhsa_system_sgpr_workgroup_info 0
		.amdhsa_system_vgpr_workitem_id 1
		.amdhsa_next_free_vgpr 25
		.amdhsa_next_free_sgpr 12
		.amdhsa_reserve_vcc 1
		.amdhsa_reserve_flat_scratch 0
		.amdhsa_float_round_mode_32 0
		.amdhsa_float_round_mode_16_64 0
		.amdhsa_float_denorm_mode_32 3
		.amdhsa_float_denorm_mode_16_64 3
		.amdhsa_dx10_clamp 1
		.amdhsa_ieee_mode 1
		.amdhsa_fp16_overflow 0
		.amdhsa_exception_fp_ieee_invalid_op 0
		.amdhsa_exception_fp_denorm_src 0
		.amdhsa_exception_fp_ieee_div_zero 0
		.amdhsa_exception_fp_ieee_overflow 0
		.amdhsa_exception_fp_ieee_underflow 0
		.amdhsa_exception_fp_ieee_inexact 0
		.amdhsa_exception_int_div_zero 0
	.end_amdhsa_kernel
	.text
.Lfunc_end2:
	.size	_Z11calculate_GdPKdS0_Pd, .Lfunc_end2-_Z11calculate_GdPKdS0_Pd
                                        ; -- End function
	.set _Z11calculate_GdPKdS0_Pd.num_vgpr, 25
	.set _Z11calculate_GdPKdS0_Pd.num_agpr, 0
	.set _Z11calculate_GdPKdS0_Pd.numbered_sgpr, 12
	.set _Z11calculate_GdPKdS0_Pd.num_named_barrier, 0
	.set _Z11calculate_GdPKdS0_Pd.private_seg_size, 0
	.set _Z11calculate_GdPKdS0_Pd.uses_vcc, 1
	.set _Z11calculate_GdPKdS0_Pd.uses_flat_scratch, 0
	.set _Z11calculate_GdPKdS0_Pd.has_dyn_sized_stack, 0
	.set _Z11calculate_GdPKdS0_Pd.has_recursion, 0
	.set _Z11calculate_GdPKdS0_Pd.has_indirect_call, 0
	.section	.AMDGPU.csdata,"",@progbits
; Kernel info:
; codeLenInByte = 932
; TotalNumSgprs: 16
; NumVgprs: 25
; ScratchSize: 0
; MemoryBound: 0
; FloatMode: 240
; IeeeMode: 1
; LDSByteSize: 0 bytes/workgroup (compile time only)
; SGPRBlocks: 1
; VGPRBlocks: 6
; NumSGPRsForWavesPerEU: 16
; NumVGPRsForWavesPerEU: 25
; Occupancy: 9
; WaveLimiterHint : 0
; COMPUTE_PGM_RSRC2:SCRATCH_EN: 0
; COMPUTE_PGM_RSRC2:USER_SGPR: 6
; COMPUTE_PGM_RSRC2:TRAP_HANDLER: 0
; COMPUTE_PGM_RSRC2:TGID_X_EN: 1
; COMPUTE_PGM_RSRC2:TGID_Y_EN: 1
; COMPUTE_PGM_RSRC2:TGID_Z_EN: 0
; COMPUTE_PGM_RSRC2:TIDIG_COMP_CNT: 1
	.text
	.protected	_Z12sum_pressurePKdS0_Pd ; -- Begin function _Z12sum_pressurePKdS0_Pd
	.globl	_Z12sum_pressurePKdS0_Pd
	.p2align	8
	.type	_Z12sum_pressurePKdS0_Pd,@function
_Z12sum_pressurePKdS0_Pd:               ; @_Z12sum_pressurePKdS0_Pd
; %bb.0:
	s_load_dword s0, s[4:5], 0x24
	s_load_dwordx4 s[8:11], s[4:5], 0x0
	s_load_dword s2, s[4:5], 0x1c
	s_waitcnt lgkmcnt(0)
	s_lshr_b32 s1, s0, 16
	s_mul_i32 s1, s7, s1
	v_add_u32_e32 v1, s1, v1
	s_movk_i32 s1, 0x102
	v_mul_lo_u32 v1, v1, s1
	s_and_b32 s0, s0, 0xffff
	s_mul_i32 s0, s6, s0
	v_add_u32_e32 v2, s0, v0
	s_movk_i32 s0, 0x103
	v_add3_u32 v1, v2, v1, s0
	v_ashrrev_i32_e32 v2, 31, v1
	v_lshlrev_b64 v[1:2], 3, v[1:2]
	v_mov_b32_e32 v4, s11
	v_add_co_u32_e32 v3, vcc, s10, v1
	v_addc_co_u32_e32 v4, vcc, v4, v2, vcc
	global_load_dwordx2 v[3:4], v[3:4], off
	v_mov_b32_e32 v5, s9
	v_add_co_u32_e32 v1, vcc, s8, v1
	v_addc_co_u32_e32 v2, vcc, v5, v2, vcc
	global_load_dwordx2 v[1:2], v[1:2], off
	v_cmp_gt_u32_e32 vcc, 64, v0
	s_waitcnt vmcnt(1)
	v_mul_f64 v[3:4], v[3:4], v[3:4]
	s_waitcnt vmcnt(0)
	v_fma_f64 v[2:3], v[1:2], v[1:2], v[3:4]
	v_lshlrev_b32_e32 v1, 3, v0
	ds_write_b64 v1, v[2:3]
	s_waitcnt lgkmcnt(0)
	s_barrier
	s_and_saveexec_b64 s[0:1], vcc
	s_cbranch_execz .LBB3_2
; %bb.1:
	ds_read2st64_b64 v[2:5], v1 offset1:1
	s_waitcnt lgkmcnt(0)
	v_add_f64 v[2:3], v[4:5], v[2:3]
	ds_write_b64 v1, v[2:3]
.LBB3_2:
	s_or_b64 exec, exec, s[0:1]
	v_cmp_gt_u32_e32 vcc, 32, v0
	s_waitcnt lgkmcnt(0)
	s_barrier
	s_and_saveexec_b64 s[0:1], vcc
	s_cbranch_execz .LBB3_4
; %bb.3:
	ds_read2_b64 v[2:5], v1 offset1:32
	s_waitcnt lgkmcnt(0)
	v_add_f64 v[2:3], v[4:5], v[2:3]
	ds_write_b64 v1, v[2:3]
.LBB3_4:
	s_or_b64 exec, exec, s[0:1]
	v_cmp_gt_u32_e32 vcc, 16, v0
	s_waitcnt lgkmcnt(0)
	s_barrier
	s_and_saveexec_b64 s[0:1], vcc
	s_cbranch_execz .LBB3_6
; %bb.5:
	ds_read2_b64 v[2:5], v1 offset1:16
	s_waitcnt lgkmcnt(0)
	v_add_f64 v[2:3], v[4:5], v[2:3]
	ds_write_b64 v1, v[2:3]
.LBB3_6:
	;; [unrolled: 12-line block ×5, first 2 shown]
	s_or_b64 exec, exec, s[0:1]
	v_cmp_eq_u32_e32 vcc, 0, v0
	s_waitcnt lgkmcnt(0)
	s_barrier
	s_and_saveexec_b64 s[0:1], vcc
	s_cbranch_execz .LBB3_14
; %bb.13:
	ds_read2_b64 v[2:5], v1 offset1:1
	s_waitcnt lgkmcnt(0)
	v_add_f64 v[2:3], v[4:5], v[2:3]
	ds_write_b64 v1, v[2:3]
.LBB3_14:
	s_or_b64 exec, exec, s[0:1]
	s_waitcnt lgkmcnt(0)
	s_barrier
	s_and_saveexec_b64 s[0:1], vcc
	s_cbranch_execz .LBB3_16
; %bb.15:
	s_load_dwordx2 s[0:1], s[4:5], 0x10
	v_mov_b32_e32 v2, 0
	s_mul_i32 s2, s2, s6
	ds_read_b64 v[0:1], v2
	s_add_i32 s2, s2, s7
	s_mov_b32 s3, 0
	s_lshl_b64 s[2:3], s[2:3], 3
	s_waitcnt lgkmcnt(0)
	s_add_u32 s0, s0, s2
	s_addc_u32 s1, s1, s3
	global_store_dwordx2 v2, v[0:1], s[0:1]
.LBB3_16:
	s_endpgm
	.section	.rodata,"a",@progbits
	.p2align	6, 0x0
	.amdhsa_kernel _Z12sum_pressurePKdS0_Pd
		.amdhsa_group_segment_fixed_size 1024
		.amdhsa_private_segment_fixed_size 0
		.amdhsa_kernarg_size 280
		.amdhsa_user_sgpr_count 6
		.amdhsa_user_sgpr_private_segment_buffer 1
		.amdhsa_user_sgpr_dispatch_ptr 0
		.amdhsa_user_sgpr_queue_ptr 0
		.amdhsa_user_sgpr_kernarg_segment_ptr 1
		.amdhsa_user_sgpr_dispatch_id 0
		.amdhsa_user_sgpr_flat_scratch_init 0
		.amdhsa_user_sgpr_private_segment_size 0
		.amdhsa_uses_dynamic_stack 0
		.amdhsa_system_sgpr_private_segment_wavefront_offset 0
		.amdhsa_system_sgpr_workgroup_id_x 1
		.amdhsa_system_sgpr_workgroup_id_y 1
		.amdhsa_system_sgpr_workgroup_id_z 0
		.amdhsa_system_sgpr_workgroup_info 0
		.amdhsa_system_vgpr_workitem_id 1
		.amdhsa_next_free_vgpr 6
		.amdhsa_next_free_sgpr 12
		.amdhsa_reserve_vcc 1
		.amdhsa_reserve_flat_scratch 0
		.amdhsa_float_round_mode_32 0
		.amdhsa_float_round_mode_16_64 0
		.amdhsa_float_denorm_mode_32 3
		.amdhsa_float_denorm_mode_16_64 3
		.amdhsa_dx10_clamp 1
		.amdhsa_ieee_mode 1
		.amdhsa_fp16_overflow 0
		.amdhsa_exception_fp_ieee_invalid_op 0
		.amdhsa_exception_fp_denorm_src 0
		.amdhsa_exception_fp_ieee_div_zero 0
		.amdhsa_exception_fp_ieee_overflow 0
		.amdhsa_exception_fp_ieee_underflow 0
		.amdhsa_exception_fp_ieee_inexact 0
		.amdhsa_exception_int_div_zero 0
	.end_amdhsa_kernel
	.text
.Lfunc_end3:
	.size	_Z12sum_pressurePKdS0_Pd, .Lfunc_end3-_Z12sum_pressurePKdS0_Pd
                                        ; -- End function
	.set _Z12sum_pressurePKdS0_Pd.num_vgpr, 6
	.set _Z12sum_pressurePKdS0_Pd.num_agpr, 0
	.set _Z12sum_pressurePKdS0_Pd.numbered_sgpr, 12
	.set _Z12sum_pressurePKdS0_Pd.num_named_barrier, 0
	.set _Z12sum_pressurePKdS0_Pd.private_seg_size, 0
	.set _Z12sum_pressurePKdS0_Pd.uses_vcc, 1
	.set _Z12sum_pressurePKdS0_Pd.uses_flat_scratch, 0
	.set _Z12sum_pressurePKdS0_Pd.has_dyn_sized_stack, 0
	.set _Z12sum_pressurePKdS0_Pd.has_recursion, 0
	.set _Z12sum_pressurePKdS0_Pd.has_indirect_call, 0
	.section	.AMDGPU.csdata,"",@progbits
; Kernel info:
; codeLenInByte = 608
; TotalNumSgprs: 16
; NumVgprs: 6
; ScratchSize: 0
; MemoryBound: 0
; FloatMode: 240
; IeeeMode: 1
; LDSByteSize: 1024 bytes/workgroup (compile time only)
; SGPRBlocks: 1
; VGPRBlocks: 1
; NumSGPRsForWavesPerEU: 16
; NumVGPRsForWavesPerEU: 6
; Occupancy: 10
; WaveLimiterHint : 0
; COMPUTE_PGM_RSRC2:SCRATCH_EN: 0
; COMPUTE_PGM_RSRC2:USER_SGPR: 6
; COMPUTE_PGM_RSRC2:TRAP_HANDLER: 0
; COMPUTE_PGM_RSRC2:TGID_X_EN: 1
; COMPUTE_PGM_RSRC2:TGID_Y_EN: 1
; COMPUTE_PGM_RSRC2:TGID_Z_EN: 0
; COMPUTE_PGM_RSRC2:TIDIG_COMP_CNT: 1
	.text
	.protected	_Z17set_horz_pres_BCsPdS_ ; -- Begin function _Z17set_horz_pres_BCsPdS_
	.globl	_Z17set_horz_pres_BCsPdS_
	.p2align	8
	.type	_Z17set_horz_pres_BCsPdS_,@function
_Z17set_horz_pres_BCsPdS_:              ; @_Z17set_horz_pres_BCsPdS_
; %bb.0:
	s_load_dword s7, s[4:5], 0x1c
	s_load_dwordx4 s[0:3], s[4:5], 0x0
	s_movk_i32 s4, 0x204
	s_waitcnt lgkmcnt(0)
	s_and_b32 s5, s7, 0xffff
	s_mul_i32 s6, s6, s5
	v_add_u32_e32 v0, s6, v0
	v_mul_lo_u32 v0, v0, s4
	v_mov_b32_e32 v17, s1
	v_mov_b32_e32 v18, s3
	v_ashrrev_i32_e32 v1, 31, v0
	v_lshlrev_b64 v[1:2], 3, v[0:1]
	v_add_u32_e32 v5, 0x205, v0
	v_ashrrev_i32_e32 v6, 31, v5
	v_add_co_u32_e32 v3, vcc, s0, v1
	v_lshlrev_b64 v[5:6], 3, v[5:6]
	v_add_u32_e32 v7, 0x202, v0
	v_addc_co_u32_e32 v4, vcc, v17, v2, vcc
	v_ashrrev_i32_e32 v8, 31, v7
	v_add_co_u32_e32 v5, vcc, s2, v5
	v_lshlrev_b64 v[7:8], 3, v[7:8]
	v_addc_co_u32_e32 v6, vcc, v18, v6, vcc
	v_add_co_u32_e32 v7, vcc, s2, v7
	global_load_dwordx2 v[3:4], v[3:4], off offset:2072
	v_addc_co_u32_e32 v8, vcc, v18, v8, vcc
	global_load_dwordx2 v[9:10], v[5:6], off
	global_load_dwordx2 v[11:12], v[7:8], off
	v_add_u32_e32 v5, 0x304, v0
	v_ashrrev_i32_e32 v6, 31, v5
	v_lshlrev_b64 v[5:6], 3, v[5:6]
	v_add_u32_e32 v7, 0x204, v0
	v_add_co_u32_e32 v5, vcc, s0, v5
	v_addc_co_u32_e32 v6, vcc, v17, v6, vcc
	global_load_dwordx2 v[5:6], v[5:6], off
	v_ashrrev_i32_e32 v8, 31, v7
	v_add_u32_e32 v13, 0x203, v0
	v_add_u32_e32 v15, 0x305, v0
	v_lshlrev_b64 v[7:8], 3, v[7:8]
	v_add_co_u32_e32 v0, vcc, s2, v1
	v_ashrrev_i32_e32 v14, 31, v13
	v_addc_co_u32_e32 v1, vcc, v18, v2, vcc
	v_lshlrev_b64 v[13:14], 3, v[13:14]
	v_add_co_u32_e32 v7, vcc, s0, v7
	v_ashrrev_i32_e32 v16, 31, v15
	v_addc_co_u32_e32 v8, vcc, v17, v8, vcc
	v_lshlrev_b64 v[15:16], 3, v[15:16]
	v_add_co_u32_e32 v13, vcc, s0, v13
	v_addc_co_u32_e32 v14, vcc, v17, v14, vcc
	v_add_co_u32_e32 v15, vcc, s2, v15
	v_addc_co_u32_e32 v16, vcc, v18, v16, vcc
	s_waitcnt vmcnt(3)
	global_store_dwordx2 v[0:1], v[3:4], off offset:2064
	s_waitcnt vmcnt(3)
	global_store_dwordx2 v[7:8], v[9:10], off
	s_waitcnt vmcnt(3)
	global_store_dwordx2 v[13:14], v[11:12], off
	;; [unrolled: 2-line block ×3, first 2 shown]
	s_endpgm
	.section	.rodata,"a",@progbits
	.p2align	6, 0x0
	.amdhsa_kernel _Z17set_horz_pres_BCsPdS_
		.amdhsa_group_segment_fixed_size 0
		.amdhsa_private_segment_fixed_size 0
		.amdhsa_kernarg_size 272
		.amdhsa_user_sgpr_count 6
		.amdhsa_user_sgpr_private_segment_buffer 1
		.amdhsa_user_sgpr_dispatch_ptr 0
		.amdhsa_user_sgpr_queue_ptr 0
		.amdhsa_user_sgpr_kernarg_segment_ptr 1
		.amdhsa_user_sgpr_dispatch_id 0
		.amdhsa_user_sgpr_flat_scratch_init 0
		.amdhsa_user_sgpr_private_segment_size 0
		.amdhsa_uses_dynamic_stack 0
		.amdhsa_system_sgpr_private_segment_wavefront_offset 0
		.amdhsa_system_sgpr_workgroup_id_x 1
		.amdhsa_system_sgpr_workgroup_id_y 0
		.amdhsa_system_sgpr_workgroup_id_z 0
		.amdhsa_system_sgpr_workgroup_info 0
		.amdhsa_system_vgpr_workitem_id 0
		.amdhsa_next_free_vgpr 19
		.amdhsa_next_free_sgpr 8
		.amdhsa_reserve_vcc 1
		.amdhsa_reserve_flat_scratch 0
		.amdhsa_float_round_mode_32 0
		.amdhsa_float_round_mode_16_64 0
		.amdhsa_float_denorm_mode_32 3
		.amdhsa_float_denorm_mode_16_64 3
		.amdhsa_dx10_clamp 1
		.amdhsa_ieee_mode 1
		.amdhsa_fp16_overflow 0
		.amdhsa_exception_fp_ieee_invalid_op 0
		.amdhsa_exception_fp_denorm_src 0
		.amdhsa_exception_fp_ieee_div_zero 0
		.amdhsa_exception_fp_ieee_overflow 0
		.amdhsa_exception_fp_ieee_underflow 0
		.amdhsa_exception_fp_ieee_inexact 0
		.amdhsa_exception_int_div_zero 0
	.end_amdhsa_kernel
	.text
.Lfunc_end4:
	.size	_Z17set_horz_pres_BCsPdS_, .Lfunc_end4-_Z17set_horz_pres_BCsPdS_
                                        ; -- End function
	.set _Z17set_horz_pres_BCsPdS_.num_vgpr, 19
	.set _Z17set_horz_pres_BCsPdS_.num_agpr, 0
	.set _Z17set_horz_pres_BCsPdS_.numbered_sgpr, 8
	.set _Z17set_horz_pres_BCsPdS_.num_named_barrier, 0
	.set _Z17set_horz_pres_BCsPdS_.private_seg_size, 0
	.set _Z17set_horz_pres_BCsPdS_.uses_vcc, 1
	.set _Z17set_horz_pres_BCsPdS_.uses_flat_scratch, 0
	.set _Z17set_horz_pres_BCsPdS_.has_dyn_sized_stack, 0
	.set _Z17set_horz_pres_BCsPdS_.has_recursion, 0
	.set _Z17set_horz_pres_BCsPdS_.has_indirect_call, 0
	.section	.AMDGPU.csdata,"",@progbits
; Kernel info:
; codeLenInByte = 336
; TotalNumSgprs: 12
; NumVgprs: 19
; ScratchSize: 0
; MemoryBound: 0
; FloatMode: 240
; IeeeMode: 1
; LDSByteSize: 0 bytes/workgroup (compile time only)
; SGPRBlocks: 1
; VGPRBlocks: 4
; NumSGPRsForWavesPerEU: 12
; NumVGPRsForWavesPerEU: 19
; Occupancy: 10
; WaveLimiterHint : 0
; COMPUTE_PGM_RSRC2:SCRATCH_EN: 0
; COMPUTE_PGM_RSRC2:USER_SGPR: 6
; COMPUTE_PGM_RSRC2:TRAP_HANDLER: 0
; COMPUTE_PGM_RSRC2:TGID_X_EN: 1
; COMPUTE_PGM_RSRC2:TGID_Y_EN: 0
; COMPUTE_PGM_RSRC2:TGID_Z_EN: 0
; COMPUTE_PGM_RSRC2:TIDIG_COMP_CNT: 0
	.text
	.protected	_Z17set_vert_pres_BCsPdS_ ; -- Begin function _Z17set_vert_pres_BCsPdS_
	.globl	_Z17set_vert_pres_BCsPdS_
	.p2align	8
	.type	_Z17set_vert_pres_BCsPdS_,@function
_Z17set_vert_pres_BCsPdS_:              ; @_Z17set_vert_pres_BCsPdS_
; %bb.0:
	s_load_dword s7, s[4:5], 0x1c
	s_load_dwordx4 s[0:3], s[4:5], 0x0
	s_waitcnt lgkmcnt(0)
	s_and_b32 s4, s7, 0xffff
	s_mul_i32 s6, s6, s4
	v_add_u32_e32 v0, s6, v0
	v_ashrrev_i32_e32 v1, 31, v0
	v_lshlrev_b64 v[1:2], 3, v[0:1]
	v_mov_b32_e32 v17, s1
	v_add_co_u32_e32 v3, vcc, s0, v1
	v_add_u32_e32 v9, 0x20401, v0
	v_addc_co_u32_e32 v4, vcc, v17, v2, vcc
	v_ashrrev_i32_e32 v10, 31, v9
	v_mov_b32_e32 v16, s3
	v_add_co_u32_e32 v1, vcc, s2, v1
	v_lshlrev_b64 v[9:10], 3, v[9:10]
	v_addc_co_u32_e32 v2, vcc, v16, v2, vcc
	v_add_co_u32_e32 v11, vcc, s0, v9
	global_load_dwordx2 v[5:6], v[3:4], off offset:2072
	v_addc_co_u32_e32 v12, vcc, v17, v10, vcc
	global_load_dwordx2 v[7:8], v[1:2], off offset:2072
	v_add_co_u32_e32 v9, vcc, s2, v9
	global_load_dwordx2 v[11:12], v[11:12], off
	v_addc_co_u32_e32 v10, vcc, v16, v10, vcc
	global_load_dwordx2 v[9:10], v[9:10], off
	v_add_u32_e32 v13, 0x20503, v0
	v_ashrrev_i32_e32 v14, 31, v13
	v_lshlrev_b64 v[13:14], 3, v[13:14]
	v_add_co_u32_e32 v15, vcc, s2, v13
	v_addc_co_u32_e32 v16, vcc, v16, v14, vcc
	v_add_co_u32_e32 v13, vcc, s0, v13
	v_addc_co_u32_e32 v14, vcc, v17, v14, vcc
	s_waitcnt vmcnt(3)
	global_store_dwordx2 v[1:2], v[5:6], off offset:8
	s_waitcnt vmcnt(3)
	global_store_dwordx2 v[3:4], v[7:8], off offset:8
	s_waitcnt vmcnt(3)
	global_store_dwordx2 v[15:16], v[11:12], off
	s_waitcnt vmcnt(3)
	global_store_dwordx2 v[13:14], v[9:10], off
	s_endpgm
	.section	.rodata,"a",@progbits
	.p2align	6, 0x0
	.amdhsa_kernel _Z17set_vert_pres_BCsPdS_
		.amdhsa_group_segment_fixed_size 0
		.amdhsa_private_segment_fixed_size 0
		.amdhsa_kernarg_size 272
		.amdhsa_user_sgpr_count 6
		.amdhsa_user_sgpr_private_segment_buffer 1
		.amdhsa_user_sgpr_dispatch_ptr 0
		.amdhsa_user_sgpr_queue_ptr 0
		.amdhsa_user_sgpr_kernarg_segment_ptr 1
		.amdhsa_user_sgpr_dispatch_id 0
		.amdhsa_user_sgpr_flat_scratch_init 0
		.amdhsa_user_sgpr_private_segment_size 0
		.amdhsa_uses_dynamic_stack 0
		.amdhsa_system_sgpr_private_segment_wavefront_offset 0
		.amdhsa_system_sgpr_workgroup_id_x 1
		.amdhsa_system_sgpr_workgroup_id_y 0
		.amdhsa_system_sgpr_workgroup_id_z 0
		.amdhsa_system_sgpr_workgroup_info 0
		.amdhsa_system_vgpr_workitem_id 0
		.amdhsa_next_free_vgpr 18
		.amdhsa_next_free_sgpr 8
		.amdhsa_reserve_vcc 1
		.amdhsa_reserve_flat_scratch 0
		.amdhsa_float_round_mode_32 0
		.amdhsa_float_round_mode_16_64 0
		.amdhsa_float_denorm_mode_32 3
		.amdhsa_float_denorm_mode_16_64 3
		.amdhsa_dx10_clamp 1
		.amdhsa_ieee_mode 1
		.amdhsa_fp16_overflow 0
		.amdhsa_exception_fp_ieee_invalid_op 0
		.amdhsa_exception_fp_denorm_src 0
		.amdhsa_exception_fp_ieee_div_zero 0
		.amdhsa_exception_fp_ieee_overflow 0
		.amdhsa_exception_fp_ieee_underflow 0
		.amdhsa_exception_fp_ieee_inexact 0
		.amdhsa_exception_int_div_zero 0
	.end_amdhsa_kernel
	.text
.Lfunc_end5:
	.size	_Z17set_vert_pres_BCsPdS_, .Lfunc_end5-_Z17set_vert_pres_BCsPdS_
                                        ; -- End function
	.set _Z17set_vert_pres_BCsPdS_.num_vgpr, 18
	.set _Z17set_vert_pres_BCsPdS_.num_agpr, 0
	.set _Z17set_vert_pres_BCsPdS_.numbered_sgpr, 8
	.set _Z17set_vert_pres_BCsPdS_.num_named_barrier, 0
	.set _Z17set_vert_pres_BCsPdS_.private_seg_size, 0
	.set _Z17set_vert_pres_BCsPdS_.uses_vcc, 1
	.set _Z17set_vert_pres_BCsPdS_.uses_flat_scratch, 0
	.set _Z17set_vert_pres_BCsPdS_.has_dyn_sized_stack, 0
	.set _Z17set_vert_pres_BCsPdS_.has_recursion, 0
	.set _Z17set_vert_pres_BCsPdS_.has_indirect_call, 0
	.section	.AMDGPU.csdata,"",@progbits
; Kernel info:
; codeLenInByte = 228
; TotalNumSgprs: 12
; NumVgprs: 18
; ScratchSize: 0
; MemoryBound: 1
; FloatMode: 240
; IeeeMode: 1
; LDSByteSize: 0 bytes/workgroup (compile time only)
; SGPRBlocks: 1
; VGPRBlocks: 4
; NumSGPRsForWavesPerEU: 12
; NumVGPRsForWavesPerEU: 18
; Occupancy: 10
; WaveLimiterHint : 1
; COMPUTE_PGM_RSRC2:SCRATCH_EN: 0
; COMPUTE_PGM_RSRC2:USER_SGPR: 6
; COMPUTE_PGM_RSRC2:TRAP_HANDLER: 0
; COMPUTE_PGM_RSRC2:TGID_X_EN: 1
; COMPUTE_PGM_RSRC2:TGID_Y_EN: 0
; COMPUTE_PGM_RSRC2:TGID_Z_EN: 0
; COMPUTE_PGM_RSRC2:TIDIG_COMP_CNT: 0
	.text
	.protected	_Z10red_kerneldPKdS0_S0_Pd ; -- Begin function _Z10red_kerneldPKdS0_S0_Pd
	.globl	_Z10red_kerneldPKdS0_S0_Pd
	.p2align	8
	.type	_Z10red_kerneldPKdS0_S0_Pd,@function
_Z10red_kerneldPKdS0_S0_Pd:             ; @_Z10red_kerneldPKdS0_S0_Pd
; %bb.0:
	s_load_dword s0, s[4:5], 0x34
	s_load_dwordx8 s[8:15], s[4:5], 0x0
	s_movk_i32 s2, 0x102
	s_waitcnt lgkmcnt(0)
	s_lshr_b32 s1, s0, 16
	s_and_b32 s0, s0, 0xffff
	s_mul_i32 s7, s7, s1
	s_mul_i32 s6, s6, s0
	v_add_u32_e32 v13, s7, v1
	v_add3_u32 v0, v0, s6, 1
	v_add_u32_e32 v1, 1, v13
	v_and_b32_e32 v14, 1, v1
	v_lshlrev_b32_e32 v1, 1, v0
	v_sub_u32_e32 v1, v1, v14
	s_movk_i32 s0, 0x202
	v_mad_u64_u32 v[1:2], s[0:1], v13, s0, v[1:2]
	v_mov_b32_e32 v15, s11
	v_mov_b32_e32 v9, s13
	v_add_u32_e32 v2, 0x202, v1
	v_ashrrev_i32_e32 v3, 31, v2
	v_lshlrev_b64 v[3:4], 3, v[2:3]
	v_add_u32_e32 v7, 0x201, v1
	v_add_co_u32_e32 v5, vcc, s10, v3
	v_addc_co_u32_e32 v6, vcc, v15, v4, vcc
	v_ashrrev_i32_e32 v8, 31, v7
	v_add_co_u32_e32 v3, vcc, s12, v3
	v_lshlrev_b64 v[7:8], 3, v[7:8]
	v_addc_co_u32_e32 v4, vcc, v9, v4, vcc
	v_add_co_u32_e32 v7, vcc, s12, v7
	v_addc_co_u32_e32 v8, vcc, v9, v8, vcc
	global_load_dwordx2 v[9:10], v[3:4], off
	global_load_dwordx2 v[11:12], v[7:8], off
	v_ashrrev_i32_e32 v2, 31, v1
	v_lshlrev_b64 v[1:2], 3, v[1:2]
	s_mov_b32 s0, 0
	v_add_co_u32_e32 v1, vcc, s10, v1
	v_addc_co_u32_e32 v2, vcc, v15, v2, vcc
	global_load_dwordx2 v[3:4], v[5:6], off
	global_load_dwordx2 v[7:8], v[1:2], off
	s_mov_b32 s1, 4.0
	s_waitcnt vmcnt(2)
	v_add_f64 v[1:2], v[9:10], -v[11:12]
	v_and_b32_e32 v11, 1, v13
	s_waitcnt vmcnt(0)
	v_add_f64 v[3:4], v[3:4], -v[7:8]
	v_ldexp_f64 v[1:2], v[1:2], 9
	v_fma_f64 v[1:2], v[3:4], s[0:1], v[1:2]
	v_div_scale_f64 v[3:4], s[0:1], s[8:9], s[8:9], v[1:2]
	v_mad_u64_u32 v[5:6], s[0:1], v13, s2, v[0:1]
	v_mov_b32_e32 v0, s15
	s_load_dwordx2 s[0:1], s[4:5], 0x20
	v_add_u32_e32 v7, 0x102, v5
	v_sub_u32_e32 v10, v7, v14
	v_ashrrev_i32_e32 v6, 31, v5
	v_add_u32_e32 v8, 0x204, v5
	v_lshlrev_b64 v[5:6], 3, v[5:6]
	v_ashrrev_i32_e32 v9, 31, v8
	v_lshlrev_b64 v[8:9], 3, v[8:9]
	v_add_co_u32_e32 v5, vcc, s14, v5
	v_add_u32_e32 v12, v7, v11
	v_rcp_f64_e32 v[14:15], v[3:4]
	v_ashrrev_i32_e32 v11, 31, v10
	v_addc_co_u32_e32 v6, vcc, v0, v6, vcc
	v_lshlrev_b64 v[10:11], 3, v[10:11]
	v_add_co_u32_e32 v16, vcc, s14, v8
	v_ashrrev_i32_e32 v13, 31, v12
	v_addc_co_u32_e32 v17, vcc, v0, v9, vcc
	v_lshlrev_b64 v[12:13], 3, v[12:13]
	v_add_co_u32_e32 v9, vcc, s14, v10
	v_addc_co_u32_e32 v10, vcc, v0, v11, vcc
	v_add_co_u32_e32 v11, vcc, s14, v12
	v_fma_f64 v[18:19], -v[3:4], v[14:15], 1.0
	v_addc_co_u32_e32 v12, vcc, v0, v13, vcc
	v_ashrrev_i32_e32 v8, 31, v7
	v_lshlrev_b64 v[7:8], 3, v[7:8]
	s_waitcnt lgkmcnt(0)
	v_mov_b32_e32 v0, s1
	v_add_co_u32_e32 v7, vcc, s0, v7
	v_fma_f64 v[13:14], v[14:15], v[18:19], v[14:15]
	global_load_dwordx2 v[18:19], v[9:10], off
	global_load_dwordx2 v[20:21], v[11:12], off
	v_addc_co_u32_e32 v8, vcc, v0, v8, vcc
	v_div_scale_f64 v[9:10], vcc, v[1:2], s[8:9], v[1:2]
	global_load_dwordx2 v[22:23], v[5:6], off
	global_load_dwordx2 v[24:25], v[16:17], off
	s_mov_b32 s0, 0
	v_fma_f64 v[11:12], -v[3:4], v[13:14], 1.0
	s_mov_b32 s1, 0x41100000
	v_fma_f64 v[5:6], v[13:14], v[11:12], v[13:14]
	v_mul_f64 v[11:12], v[9:10], v[5:6]
	v_fma_f64 v[3:4], -v[3:4], v[11:12], v[9:10]
	global_load_dwordx2 v[9:10], v[7:8], off
	v_div_fmas_f64 v[3:4], v[3:4], v[5:6], v[11:12]
	v_div_fixup_f64 v[0:1], v[3:4], s[8:9], v[1:2]
	s_waitcnt vmcnt(3)
	v_add_f64 v[5:6], v[18:19], v[20:21]
	s_waitcnt vmcnt(1)
	v_add_f64 v[11:12], v[22:23], v[24:25]
	v_ldexp_f64 v[5:6], v[5:6], 18
	v_fma_f64 v[2:3], v[11:12], s[0:1], v[5:6]
	s_mov_b32 s0, 0x66666666
	s_mov_b32 s1, 0xbfe66666
	v_add_f64 v[0:1], v[2:3], -v[0:1]
	s_waitcnt vmcnt(0)
	v_mul_f64 v[2:3], v[9:10], s[0:1]
	s_mov_b32 s0, 0x33333333
	s_mov_b32 s1, 0x3ffb3333
	v_mul_f64 v[0:1], v[0:1], s[0:1]
	s_mov_b32 s0, 0
	s_mov_b32 s1, 0x3eb00000
	v_fma_f64 v[0:1], v[0:1], s[0:1], v[2:3]
	global_store_dwordx2 v[7:8], v[0:1], off
	s_endpgm
	.section	.rodata,"a",@progbits
	.p2align	6, 0x0
	.amdhsa_kernel _Z10red_kerneldPKdS0_S0_Pd
		.amdhsa_group_segment_fixed_size 0
		.amdhsa_private_segment_fixed_size 0
		.amdhsa_kernarg_size 296
		.amdhsa_user_sgpr_count 6
		.amdhsa_user_sgpr_private_segment_buffer 1
		.amdhsa_user_sgpr_dispatch_ptr 0
		.amdhsa_user_sgpr_queue_ptr 0
		.amdhsa_user_sgpr_kernarg_segment_ptr 1
		.amdhsa_user_sgpr_dispatch_id 0
		.amdhsa_user_sgpr_flat_scratch_init 0
		.amdhsa_user_sgpr_private_segment_size 0
		.amdhsa_uses_dynamic_stack 0
		.amdhsa_system_sgpr_private_segment_wavefront_offset 0
		.amdhsa_system_sgpr_workgroup_id_x 1
		.amdhsa_system_sgpr_workgroup_id_y 1
		.amdhsa_system_sgpr_workgroup_id_z 0
		.amdhsa_system_sgpr_workgroup_info 0
		.amdhsa_system_vgpr_workitem_id 1
		.amdhsa_next_free_vgpr 26
		.amdhsa_next_free_sgpr 16
		.amdhsa_reserve_vcc 1
		.amdhsa_reserve_flat_scratch 0
		.amdhsa_float_round_mode_32 0
		.amdhsa_float_round_mode_16_64 0
		.amdhsa_float_denorm_mode_32 3
		.amdhsa_float_denorm_mode_16_64 3
		.amdhsa_dx10_clamp 1
		.amdhsa_ieee_mode 1
		.amdhsa_fp16_overflow 0
		.amdhsa_exception_fp_ieee_invalid_op 0
		.amdhsa_exception_fp_denorm_src 0
		.amdhsa_exception_fp_ieee_div_zero 0
		.amdhsa_exception_fp_ieee_overflow 0
		.amdhsa_exception_fp_ieee_underflow 0
		.amdhsa_exception_fp_ieee_inexact 0
		.amdhsa_exception_int_div_zero 0
	.end_amdhsa_kernel
	.text
.Lfunc_end6:
	.size	_Z10red_kerneldPKdS0_S0_Pd, .Lfunc_end6-_Z10red_kerneldPKdS0_S0_Pd
                                        ; -- End function
	.set _Z10red_kerneldPKdS0_S0_Pd.num_vgpr, 26
	.set _Z10red_kerneldPKdS0_S0_Pd.num_agpr, 0
	.set _Z10red_kerneldPKdS0_S0_Pd.numbered_sgpr, 16
	.set _Z10red_kerneldPKdS0_S0_Pd.num_named_barrier, 0
	.set _Z10red_kerneldPKdS0_S0_Pd.private_seg_size, 0
	.set _Z10red_kerneldPKdS0_S0_Pd.uses_vcc, 1
	.set _Z10red_kerneldPKdS0_S0_Pd.uses_flat_scratch, 0
	.set _Z10red_kerneldPKdS0_S0_Pd.has_dyn_sized_stack, 0
	.set _Z10red_kerneldPKdS0_S0_Pd.has_recursion, 0
	.set _Z10red_kerneldPKdS0_S0_Pd.has_indirect_call, 0
	.section	.AMDGPU.csdata,"",@progbits
; Kernel info:
; codeLenInByte = 680
; TotalNumSgprs: 20
; NumVgprs: 26
; ScratchSize: 0
; MemoryBound: 0
; FloatMode: 240
; IeeeMode: 1
; LDSByteSize: 0 bytes/workgroup (compile time only)
; SGPRBlocks: 2
; VGPRBlocks: 6
; NumSGPRsForWavesPerEU: 20
; NumVGPRsForWavesPerEU: 26
; Occupancy: 9
; WaveLimiterHint : 0
; COMPUTE_PGM_RSRC2:SCRATCH_EN: 0
; COMPUTE_PGM_RSRC2:USER_SGPR: 6
; COMPUTE_PGM_RSRC2:TRAP_HANDLER: 0
; COMPUTE_PGM_RSRC2:TGID_X_EN: 1
; COMPUTE_PGM_RSRC2:TGID_Y_EN: 1
; COMPUTE_PGM_RSRC2:TGID_Z_EN: 0
; COMPUTE_PGM_RSRC2:TIDIG_COMP_CNT: 1
	.text
	.protected	_Z12black_kerneldPKdS0_S0_Pd ; -- Begin function _Z12black_kerneldPKdS0_S0_Pd
	.globl	_Z12black_kerneldPKdS0_S0_Pd
	.p2align	8
	.type	_Z12black_kerneldPKdS0_S0_Pd,@function
_Z12black_kerneldPKdS0_S0_Pd:           ; @_Z12black_kerneldPKdS0_S0_Pd
; %bb.0:
	s_load_dword s0, s[4:5], 0x34
	s_load_dwordx8 s[8:15], s[4:5], 0x0
	s_waitcnt lgkmcnt(0)
	s_lshr_b32 s1, s0, 16
	s_and_b32 s0, s0, 0xffff
	s_mul_i32 s6, s6, s0
	s_mul_i32 s7, s7, s1
	v_add3_u32 v0, v0, s6, 1
	v_add_u32_e32 v13, s7, v1
	v_and_b32_e32 v14, 1, v13
	v_lshlrev_b32_e32 v1, 1, v0
	v_sub_u32_e32 v1, v1, v14
	s_movk_i32 s0, 0x202
	v_mad_u64_u32 v[1:2], s[0:1], v13, s0, v[1:2]
	v_mov_b32_e32 v15, s11
	v_mov_b32_e32 v9, s13
	v_add_u32_e32 v2, 0x202, v1
	v_ashrrev_i32_e32 v3, 31, v2
	v_lshlrev_b64 v[3:4], 3, v[2:3]
	v_add_u32_e32 v7, 0x201, v1
	v_add_co_u32_e32 v5, vcc, s10, v3
	v_addc_co_u32_e32 v6, vcc, v15, v4, vcc
	v_ashrrev_i32_e32 v8, 31, v7
	v_add_co_u32_e32 v3, vcc, s12, v3
	v_lshlrev_b64 v[7:8], 3, v[7:8]
	v_addc_co_u32_e32 v4, vcc, v9, v4, vcc
	v_add_co_u32_e32 v7, vcc, s12, v7
	v_addc_co_u32_e32 v8, vcc, v9, v8, vcc
	global_load_dwordx2 v[9:10], v[3:4], off
	global_load_dwordx2 v[11:12], v[7:8], off
	v_ashrrev_i32_e32 v2, 31, v1
	v_lshlrev_b64 v[1:2], 3, v[1:2]
	s_mov_b32 s0, 0
	v_add_co_u32_e32 v1, vcc, s10, v1
	v_addc_co_u32_e32 v2, vcc, v15, v2, vcc
	global_load_dwordx2 v[3:4], v[5:6], off
	global_load_dwordx2 v[7:8], v[1:2], off
	s_mov_b32 s1, 4.0
	s_waitcnt vmcnt(2)
	v_add_f64 v[1:2], v[9:10], -v[11:12]
	s_waitcnt vmcnt(0)
	v_add_f64 v[3:4], v[3:4], -v[7:8]
	v_ldexp_f64 v[1:2], v[1:2], 9
	v_fma_f64 v[1:2], v[3:4], s[0:1], v[1:2]
	s_load_dwordx2 s[0:1], s[4:5], 0x20
	s_movk_i32 s4, 0x102
	v_div_scale_f64 v[3:4], s[2:3], s[8:9], s[8:9], v[1:2]
	v_mad_u64_u32 v[5:6], s[2:3], v13, s4, v[0:1]
	v_add_u32_e32 v6, 1, v13
	v_and_b32_e32 v11, 1, v6
	v_add_u32_e32 v7, 0x102, v5
	v_sub_u32_e32 v10, v7, v14
	v_ashrrev_i32_e32 v6, 31, v5
	v_add_u32_e32 v8, 0x204, v5
	v_lshlrev_b64 v[5:6], 3, v[5:6]
	v_ashrrev_i32_e32 v9, 31, v8
	v_mov_b32_e32 v0, s15
	v_lshlrev_b64 v[8:9], 3, v[8:9]
	v_add_co_u32_e32 v5, vcc, s14, v5
	v_rcp_f64_e32 v[14:15], v[3:4]
	v_add_u32_e32 v12, v7, v11
	v_ashrrev_i32_e32 v11, 31, v10
	v_addc_co_u32_e32 v6, vcc, v0, v6, vcc
	v_lshlrev_b64 v[10:11], 3, v[10:11]
	v_add_co_u32_e32 v16, vcc, s14, v8
	v_ashrrev_i32_e32 v13, 31, v12
	v_addc_co_u32_e32 v17, vcc, v0, v9, vcc
	v_lshlrev_b64 v[12:13], 3, v[12:13]
	v_add_co_u32_e32 v9, vcc, s14, v10
	v_addc_co_u32_e32 v10, vcc, v0, v11, vcc
	v_fma_f64 v[18:19], -v[3:4], v[14:15], 1.0
	v_add_co_u32_e32 v11, vcc, s14, v12
	v_addc_co_u32_e32 v12, vcc, v0, v13, vcc
	v_ashrrev_i32_e32 v8, 31, v7
	v_lshlrev_b64 v[7:8], 3, v[7:8]
	s_waitcnt lgkmcnt(0)
	v_mov_b32_e32 v0, s1
	v_fma_f64 v[13:14], v[14:15], v[18:19], v[14:15]
	global_load_dwordx2 v[18:19], v[9:10], off
	global_load_dwordx2 v[20:21], v[11:12], off
	v_add_co_u32_e32 v7, vcc, s0, v7
	v_addc_co_u32_e32 v8, vcc, v0, v8, vcc
	v_div_scale_f64 v[9:10], vcc, v[1:2], s[8:9], v[1:2]
	v_fma_f64 v[11:12], -v[3:4], v[13:14], 1.0
	global_load_dwordx2 v[22:23], v[5:6], off
	global_load_dwordx2 v[24:25], v[16:17], off
	s_mov_b32 s0, 0
	s_mov_b32 s1, 0x41100000
	v_fma_f64 v[5:6], v[13:14], v[11:12], v[13:14]
	v_mul_f64 v[11:12], v[9:10], v[5:6]
	v_fma_f64 v[3:4], -v[3:4], v[11:12], v[9:10]
	global_load_dwordx2 v[9:10], v[7:8], off
	v_div_fmas_f64 v[3:4], v[3:4], v[5:6], v[11:12]
	v_div_fixup_f64 v[0:1], v[3:4], s[8:9], v[1:2]
	s_waitcnt vmcnt(3)
	v_add_f64 v[5:6], v[18:19], v[20:21]
	s_waitcnt vmcnt(1)
	v_add_f64 v[11:12], v[22:23], v[24:25]
	v_ldexp_f64 v[5:6], v[5:6], 18
	v_fma_f64 v[2:3], v[11:12], s[0:1], v[5:6]
	s_mov_b32 s0, 0x66666666
	s_mov_b32 s1, 0xbfe66666
	v_add_f64 v[0:1], v[2:3], -v[0:1]
	s_waitcnt vmcnt(0)
	v_mul_f64 v[2:3], v[9:10], s[0:1]
	s_mov_b32 s0, 0x33333333
	s_mov_b32 s1, 0x3ffb3333
	v_mul_f64 v[0:1], v[0:1], s[0:1]
	s_mov_b32 s0, 0
	s_mov_b32 s1, 0x3eb00000
	v_fma_f64 v[0:1], v[0:1], s[0:1], v[2:3]
	global_store_dwordx2 v[7:8], v[0:1], off
	s_endpgm
	.section	.rodata,"a",@progbits
	.p2align	6, 0x0
	.amdhsa_kernel _Z12black_kerneldPKdS0_S0_Pd
		.amdhsa_group_segment_fixed_size 0
		.amdhsa_private_segment_fixed_size 0
		.amdhsa_kernarg_size 296
		.amdhsa_user_sgpr_count 6
		.amdhsa_user_sgpr_private_segment_buffer 1
		.amdhsa_user_sgpr_dispatch_ptr 0
		.amdhsa_user_sgpr_queue_ptr 0
		.amdhsa_user_sgpr_kernarg_segment_ptr 1
		.amdhsa_user_sgpr_dispatch_id 0
		.amdhsa_user_sgpr_flat_scratch_init 0
		.amdhsa_user_sgpr_private_segment_size 0
		.amdhsa_uses_dynamic_stack 0
		.amdhsa_system_sgpr_private_segment_wavefront_offset 0
		.amdhsa_system_sgpr_workgroup_id_x 1
		.amdhsa_system_sgpr_workgroup_id_y 1
		.amdhsa_system_sgpr_workgroup_id_z 0
		.amdhsa_system_sgpr_workgroup_info 0
		.amdhsa_system_vgpr_workitem_id 1
		.amdhsa_next_free_vgpr 26
		.amdhsa_next_free_sgpr 16
		.amdhsa_reserve_vcc 1
		.amdhsa_reserve_flat_scratch 0
		.amdhsa_float_round_mode_32 0
		.amdhsa_float_round_mode_16_64 0
		.amdhsa_float_denorm_mode_32 3
		.amdhsa_float_denorm_mode_16_64 3
		.amdhsa_dx10_clamp 1
		.amdhsa_ieee_mode 1
		.amdhsa_fp16_overflow 0
		.amdhsa_exception_fp_ieee_invalid_op 0
		.amdhsa_exception_fp_denorm_src 0
		.amdhsa_exception_fp_ieee_div_zero 0
		.amdhsa_exception_fp_ieee_overflow 0
		.amdhsa_exception_fp_ieee_underflow 0
		.amdhsa_exception_fp_ieee_inexact 0
		.amdhsa_exception_int_div_zero 0
	.end_amdhsa_kernel
	.text
.Lfunc_end7:
	.size	_Z12black_kerneldPKdS0_S0_Pd, .Lfunc_end7-_Z12black_kerneldPKdS0_S0_Pd
                                        ; -- End function
	.set _Z12black_kerneldPKdS0_S0_Pd.num_vgpr, 26
	.set _Z12black_kerneldPKdS0_S0_Pd.num_agpr, 0
	.set _Z12black_kerneldPKdS0_S0_Pd.numbered_sgpr, 16
	.set _Z12black_kerneldPKdS0_S0_Pd.num_named_barrier, 0
	.set _Z12black_kerneldPKdS0_S0_Pd.private_seg_size, 0
	.set _Z12black_kerneldPKdS0_S0_Pd.uses_vcc, 1
	.set _Z12black_kerneldPKdS0_S0_Pd.uses_flat_scratch, 0
	.set _Z12black_kerneldPKdS0_S0_Pd.has_dyn_sized_stack, 0
	.set _Z12black_kerneldPKdS0_S0_Pd.has_recursion, 0
	.set _Z12black_kerneldPKdS0_S0_Pd.has_indirect_call, 0
	.section	.AMDGPU.csdata,"",@progbits
; Kernel info:
; codeLenInByte = 680
; TotalNumSgprs: 20
; NumVgprs: 26
; ScratchSize: 0
; MemoryBound: 0
; FloatMode: 240
; IeeeMode: 1
; LDSByteSize: 0 bytes/workgroup (compile time only)
; SGPRBlocks: 2
; VGPRBlocks: 6
; NumSGPRsForWavesPerEU: 20
; NumVGPRsForWavesPerEU: 26
; Occupancy: 9
; WaveLimiterHint : 0
; COMPUTE_PGM_RSRC2:SCRATCH_EN: 0
; COMPUTE_PGM_RSRC2:USER_SGPR: 6
; COMPUTE_PGM_RSRC2:TRAP_HANDLER: 0
; COMPUTE_PGM_RSRC2:TGID_X_EN: 1
; COMPUTE_PGM_RSRC2:TGID_Y_EN: 1
; COMPUTE_PGM_RSRC2:TGID_Z_EN: 0
; COMPUTE_PGM_RSRC2:TIDIG_COMP_CNT: 1
	.text
	.protected	_Z13calc_residualdPKdS0_S0_S0_Pd ; -- Begin function _Z13calc_residualdPKdS0_S0_S0_Pd
	.globl	_Z13calc_residualdPKdS0_S0_S0_Pd
	.p2align	8
	.type	_Z13calc_residualdPKdS0_S0_S0_Pd,@function
_Z13calc_residualdPKdS0_S0_S0_Pd:       ; @_Z13calc_residualdPKdS0_S0_S0_Pd
; %bb.0:
	s_load_dword s0, s[4:5], 0x3c
	s_load_dwordx8 s[8:15], s[4:5], 0x0
	s_load_dword s2, s[4:5], 0x34
	s_movk_i32 s3, 0x102
	s_waitcnt lgkmcnt(0)
	s_lshr_b32 s1, s0, 16
	s_mul_i32 s1, s7, s1
	s_and_b32 s0, s0, 0xffff
	v_add_u32_e32 v27, s1, v1
	s_movk_i32 s1, 0x202
	s_mul_i32 s0, s6, s0
	v_mul_lo_u32 v11, v27, s1
	v_add3_u32 v2, v0, s0, 1
	v_add_u32_e32 v1, 1, v27
	v_and_b32_e32 v1, 1, v1
	v_lshlrev_b32_e32 v12, 1, v2
	v_sub_u32_e32 v9, v12, v1
	v_add_u32_e32 v5, v9, v11
	v_add_u32_e32 v13, 0x202, v11
	v_ashrrev_i32_e32 v6, 31, v5
	v_add_u32_e32 v3, v9, v13
	v_lshlrev_b64 v[5:6], 3, v[5:6]
	v_ashrrev_i32_e32 v4, 31, v3
	v_lshlrev_b64 v[3:4], 3, v[3:4]
	v_mov_b32_e32 v28, s11
	v_add_co_u32_e32 v5, vcc, s10, v5
	v_addc_co_u32_e32 v6, vcc, v28, v6, vcc
	v_add_u32_e32 v17, 0x201, v11
	v_add_co_u32_e32 v7, vcc, s10, v3
	v_add_u32_e32 v9, v17, v9
	v_addc_co_u32_e32 v8, vcc, v28, v4, vcc
	v_ashrrev_i32_e32 v10, 31, v9
	v_and_b32_e32 v30, 1, v27
	v_mov_b32_e32 v23, s13
	v_add_co_u32_e32 v3, vcc, s12, v3
	v_lshlrev_b64 v[9:10], 3, v[9:10]
	v_sub_u32_e32 v18, v12, v30
	v_addc_co_u32_e32 v4, vcc, v23, v4, vcc
	v_add_u32_e32 v11, v18, v11
	v_add_co_u32_e32 v9, vcc, s12, v9
	v_ashrrev_i32_e32 v12, 31, v11
	v_addc_co_u32_e32 v10, vcc, v23, v10, vcc
	v_lshlrev_b64 v[11:12], 3, v[11:12]
	v_add_u32_e32 v13, v13, v18
	global_load_dwordx2 v[19:20], v[3:4], off
	global_load_dwordx2 v[21:22], v[9:10], off
	v_ashrrev_i32_e32 v14, 31, v13
	v_add_co_u32_e32 v11, vcc, s10, v11
	v_lshlrev_b64 v[13:14], 3, v[13:14]
	v_add_u32_e32 v17, v17, v18
	v_addc_co_u32_e32 v12, vcc, v28, v12, vcc
	v_ashrrev_i32_e32 v18, 31, v17
	v_add_co_u32_e32 v15, vcc, s12, v13
	v_lshlrev_b64 v[17:18], 3, v[17:18]
	v_addc_co_u32_e32 v16, vcc, v23, v14, vcc
	v_add_co_u32_e32 v3, vcc, s12, v17
	v_addc_co_u32_e32 v4, vcc, v23, v18, vcc
	global_load_dwordx2 v[9:10], v[15:16], off
	global_load_dwordx2 v[17:18], v[3:4], off
	;; [unrolled: 1-line block ×4, first 2 shown]
	v_add_co_u32_e32 v3, vcc, s10, v13
	v_addc_co_u32_e32 v4, vcc, v28, v14, vcc
	global_load_dwordx2 v[5:6], v[11:12], off
	global_load_dwordx2 v[7:8], v[3:4], off
	s_mov_b32 s0, 0
	s_mov_b32 s1, 4.0
	s_load_dwordx2 s[10:11], s[4:5], 0x20
	v_mov_b32_e32 v32, s15
	s_waitcnt vmcnt(6)
	v_add_f64 v[3:4], v[19:20], -v[21:22]
	v_ldexp_f64 v[3:4], v[3:4], 9
	s_waitcnt vmcnt(4)
	v_add_f64 v[9:10], v[9:10], -v[17:18]
	s_waitcnt vmcnt(2)
	v_add_f64 v[11:12], v[25:26], -v[23:24]
	;; [unrolled: 2-line block ×3, first 2 shown]
	v_ldexp_f64 v[7:8], v[9:10], 9
	v_fma_f64 v[3:4], v[11:12], s[0:1], v[3:4]
	v_fma_f64 v[5:6], v[5:6], s[0:1], v[7:8]
	v_div_scale_f64 v[7:8], s[0:1], s[8:9], s[8:9], v[3:4]
	v_mad_u64_u32 v[23:24], s[12:13], v27, s3, v[2:3]
	s_waitcnt lgkmcnt(0)
	v_mov_b32_e32 v2, s11
	v_div_scale_f64 v[9:10], s[0:1], s[8:9], s[8:9], v[5:6]
	v_div_scale_f64 v[19:20], s[0:1], v[5:6], s[8:9], v[5:6]
	v_ashrrev_i32_e32 v24, 31, v23
	v_add_u32_e32 v26, 0x204, v23
	v_ashrrev_i32_e32 v27, 31, v26
	v_lshlrev_b64 v[26:27], 3, v[26:27]
	v_rcp_f64_e32 v[11:12], v[7:8]
	v_rcp_f64_e32 v[13:14], v[9:10]
	v_fma_f64 v[15:16], -v[7:8], v[11:12], 1.0
	v_fma_f64 v[17:18], -v[9:10], v[13:14], 1.0
	v_fma_f64 v[11:12], v[11:12], v[15:16], v[11:12]
	v_div_scale_f64 v[15:16], vcc, v[3:4], s[8:9], v[3:4]
	v_fma_f64 v[13:14], v[13:14], v[17:18], v[13:14]
	v_fma_f64 v[17:18], -v[7:8], v[11:12], 1.0
	v_fma_f64 v[21:22], -v[9:10], v[13:14], 1.0
	v_fma_f64 v[11:12], v[11:12], v[17:18], v[11:12]
	v_fma_f64 v[13:14], v[13:14], v[21:22], v[13:14]
	v_mul_f64 v[17:18], v[15:16], v[11:12]
	v_mul_f64 v[21:22], v[19:20], v[13:14]
	v_fma_f64 v[7:8], -v[7:8], v[17:18], v[15:16]
	v_add_u32_e32 v15, 0x102, v23
	v_ashrrev_i32_e32 v16, 31, v15
	v_fma_f64 v[9:10], -v[9:10], v[21:22], v[19:20]
	v_lshlrev_b64 v[19:20], 3, v[23:24]
	v_div_fmas_f64 v[7:8], v[7:8], v[11:12], v[17:18]
	v_add_co_u32_e32 v11, vcc, s10, v19
	v_addc_co_u32_e32 v12, vcc, v2, v20, vcc
	v_add_co_u32_e32 v17, vcc, s14, v19
	v_addc_co_u32_e32 v18, vcc, v32, v20, vcc
	v_lshlrev_b64 v[19:20], 3, v[15:16]
	s_mov_b64 vcc, s[0:1]
	v_add_u32_e32 v24, v15, v30
	s_nop 0
	v_div_fmas_f64 v[9:10], v[9:10], v[13:14], v[21:22]
	v_add_co_u32_e32 v13, vcc, s14, v19
	v_sub_u32_e32 v21, v15, v1
	v_addc_co_u32_e32 v14, vcc, v32, v20, vcc
	v_ashrrev_i32_e32 v22, 31, v21
	v_add_co_u32_e32 v19, vcc, s10, v19
	v_lshlrev_b64 v[21:22], 3, v[21:22]
	v_addc_co_u32_e32 v20, vcc, v2, v20, vcc
	v_ashrrev_i32_e32 v25, 31, v24
	v_add_co_u32_e32 v21, vcc, s10, v21
	v_lshlrev_b64 v[24:25], 3, v[24:25]
	v_addc_co_u32_e32 v22, vcc, v2, v22, vcc
	v_add_co_u32_e32 v24, vcc, s10, v24
	v_addc_co_u32_e32 v25, vcc, v2, v25, vcc
	v_add_co_u32_e32 v28, vcc, s10, v26
	v_sub_u32_e32 v30, v15, v30
	v_addc_co_u32_e32 v29, vcc, v2, v27, vcc
	v_ashrrev_i32_e32 v31, 31, v30
	v_add_co_u32_e32 v26, vcc, s14, v26
	v_lshlrev_b64 v[30:31], 3, v[30:31]
	v_add_u32_e32 v1, v15, v1
	v_addc_co_u32_e32 v27, vcc, v32, v27, vcc
	v_ashrrev_i32_e32 v2, 31, v1
	v_add_co_u32_e32 v30, vcc, s14, v30
	v_lshlrev_b64 v[1:2], 3, v[1:2]
	v_addc_co_u32_e32 v31, vcc, v32, v31, vcc
	v_add_co_u32_e32 v1, vcc, s14, v1
	v_addc_co_u32_e32 v2, vcc, v32, v2, vcc
	global_load_dwordx2 v[15:16], v[19:20], off
	s_nop 0
	global_load_dwordx2 v[19:20], v[26:27], off
	s_nop 0
	;; [unrolled: 2-line block ×4, first 2 shown]
	global_load_dwordx2 v[17:18], v[17:18], off
	s_mov_b32 s0, 0
	s_mov_b32 s1, 0x41100000
	v_div_fixup_f64 v[5:6], v[9:10], s[8:9], v[5:6]
	v_div_fixup_f64 v[3:4], v[7:8], s[8:9], v[3:4]
	v_cmp_gt_u32_e32 vcc, 64, v0
	s_waitcnt vmcnt(3)
	v_fma_f64 v[19:20], v[15:16], -2.0, v[19:20]
	s_waitcnt vmcnt(2)
	v_fma_f64 v[1:2], v[15:16], -2.0, v[1:2]
	global_load_dwordx2 v[15:16], v[13:14], off
	global_load_dwordx2 v[30:31], v[24:25], off
                                        ; kill: killed $vgpr13 killed $vgpr14
                                        ; kill: killed $vgpr24 killed $vgpr25
	s_nop 0
	global_load_dwordx2 v[13:14], v[28:29], off
	global_load_dwordx2 v[23:24], v[21:22], off
                                        ; kill: killed $vgpr28 killed $vgpr29
                                        ; kill: killed $vgpr21 killed $vgpr22
	s_nop 0
	global_load_dwordx2 v[11:12], v[11:12], off
	s_waitcnt vmcnt(6)
	v_add_f64 v[1:2], v[26:27], v[1:2]
	v_ldexp_f64 v[1:2], v[1:2], 18
	s_waitcnt vmcnt(3)
	v_fma_f64 v[21:22], v[15:16], -2.0, v[30:31]
	s_waitcnt vmcnt(2)
	v_fma_f64 v[13:14], v[15:16], -2.0, v[13:14]
	v_add_f64 v[15:16], v[17:18], v[19:20]
	s_waitcnt vmcnt(1)
	v_add_f64 v[17:18], v[23:24], v[21:22]
	s_waitcnt vmcnt(0)
	v_add_f64 v[11:12], v[11:12], v[13:14]
	v_fma_f64 v[1:2], v[15:16], s[0:1], v[1:2]
	v_ldexp_f64 v[13:14], v[17:18], 18
	v_add_f64 v[1:2], v[1:2], -v[5:6]
	v_fma_f64 v[9:10], v[11:12], s[0:1], v[13:14]
	v_mul_f64 v[1:2], v[1:2], v[1:2]
	v_add_f64 v[3:4], v[9:10], -v[3:4]
	v_fma_f64 v[2:3], v[3:4], v[3:4], v[1:2]
	v_lshlrev_b32_e32 v1, 3, v0
	ds_write_b64 v1, v[2:3]
	s_waitcnt lgkmcnt(0)
	s_barrier
	s_and_saveexec_b64 s[0:1], vcc
	s_cbranch_execz .LBB8_2
; %bb.1:
	ds_read2st64_b64 v[2:5], v1 offset1:1
	s_waitcnt lgkmcnt(0)
	v_add_f64 v[2:3], v[4:5], v[2:3]
	ds_write_b64 v1, v[2:3]
.LBB8_2:
	s_or_b64 exec, exec, s[0:1]
	v_cmp_gt_u32_e32 vcc, 32, v0
	s_waitcnt lgkmcnt(0)
	s_barrier
	s_and_saveexec_b64 s[0:1], vcc
	s_cbranch_execz .LBB8_4
; %bb.3:
	ds_read2_b64 v[2:5], v1 offset1:32
	s_waitcnt lgkmcnt(0)
	v_add_f64 v[2:3], v[4:5], v[2:3]
	ds_write_b64 v1, v[2:3]
.LBB8_4:
	s_or_b64 exec, exec, s[0:1]
	v_cmp_gt_u32_e32 vcc, 16, v0
	s_waitcnt lgkmcnt(0)
	s_barrier
	s_and_saveexec_b64 s[0:1], vcc
	s_cbranch_execz .LBB8_6
; %bb.5:
	ds_read2_b64 v[2:5], v1 offset1:16
	s_waitcnt lgkmcnt(0)
	v_add_f64 v[2:3], v[4:5], v[2:3]
	ds_write_b64 v1, v[2:3]
.LBB8_6:
	;; [unrolled: 12-line block ×5, first 2 shown]
	s_or_b64 exec, exec, s[0:1]
	v_cmp_eq_u32_e32 vcc, 0, v0
	s_waitcnt lgkmcnt(0)
	s_barrier
	s_and_saveexec_b64 s[0:1], vcc
	s_cbranch_execz .LBB8_14
; %bb.13:
	ds_read2_b64 v[2:5], v1 offset1:1
	s_waitcnt lgkmcnt(0)
	v_add_f64 v[2:3], v[4:5], v[2:3]
	ds_write_b64 v1, v[2:3]
.LBB8_14:
	s_or_b64 exec, exec, s[0:1]
	s_waitcnt lgkmcnt(0)
	s_barrier
	s_and_saveexec_b64 s[0:1], vcc
	s_cbranch_execz .LBB8_16
; %bb.15:
	s_load_dwordx2 s[0:1], s[4:5], 0x28
	v_mov_b32_e32 v2, 0
	s_mul_i32 s2, s2, s6
	ds_read_b64 v[0:1], v2
	s_add_i32 s2, s2, s7
	s_mov_b32 s3, 0
	s_lshl_b64 s[2:3], s[2:3], 3
	s_waitcnt lgkmcnt(0)
	s_add_u32 s0, s0, s2
	s_addc_u32 s1, s1, s3
	global_store_dwordx2 v2, v[0:1], s[0:1]
.LBB8_16:
	s_endpgm
	.section	.rodata,"a",@progbits
	.p2align	6, 0x0
	.amdhsa_kernel _Z13calc_residualdPKdS0_S0_S0_Pd
		.amdhsa_group_segment_fixed_size 1024
		.amdhsa_private_segment_fixed_size 0
		.amdhsa_kernarg_size 304
		.amdhsa_user_sgpr_count 6
		.amdhsa_user_sgpr_private_segment_buffer 1
		.amdhsa_user_sgpr_dispatch_ptr 0
		.amdhsa_user_sgpr_queue_ptr 0
		.amdhsa_user_sgpr_kernarg_segment_ptr 1
		.amdhsa_user_sgpr_dispatch_id 0
		.amdhsa_user_sgpr_flat_scratch_init 0
		.amdhsa_user_sgpr_private_segment_size 0
		.amdhsa_uses_dynamic_stack 0
		.amdhsa_system_sgpr_private_segment_wavefront_offset 0
		.amdhsa_system_sgpr_workgroup_id_x 1
		.amdhsa_system_sgpr_workgroup_id_y 1
		.amdhsa_system_sgpr_workgroup_id_z 0
		.amdhsa_system_sgpr_workgroup_info 0
		.amdhsa_system_vgpr_workitem_id 1
		.amdhsa_next_free_vgpr 33
		.amdhsa_next_free_sgpr 16
		.amdhsa_reserve_vcc 1
		.amdhsa_reserve_flat_scratch 0
		.amdhsa_float_round_mode_32 0
		.amdhsa_float_round_mode_16_64 0
		.amdhsa_float_denorm_mode_32 3
		.amdhsa_float_denorm_mode_16_64 3
		.amdhsa_dx10_clamp 1
		.amdhsa_ieee_mode 1
		.amdhsa_fp16_overflow 0
		.amdhsa_exception_fp_ieee_invalid_op 0
		.amdhsa_exception_fp_denorm_src 0
		.amdhsa_exception_fp_ieee_div_zero 0
		.amdhsa_exception_fp_ieee_overflow 0
		.amdhsa_exception_fp_ieee_underflow 0
		.amdhsa_exception_fp_ieee_inexact 0
		.amdhsa_exception_int_div_zero 0
	.end_amdhsa_kernel
	.text
.Lfunc_end8:
	.size	_Z13calc_residualdPKdS0_S0_S0_Pd, .Lfunc_end8-_Z13calc_residualdPKdS0_S0_S0_Pd
                                        ; -- End function
	.set _Z13calc_residualdPKdS0_S0_S0_Pd.num_vgpr, 33
	.set _Z13calc_residualdPKdS0_S0_S0_Pd.num_agpr, 0
	.set _Z13calc_residualdPKdS0_S0_S0_Pd.numbered_sgpr, 16
	.set _Z13calc_residualdPKdS0_S0_S0_Pd.num_named_barrier, 0
	.set _Z13calc_residualdPKdS0_S0_S0_Pd.private_seg_size, 0
	.set _Z13calc_residualdPKdS0_S0_S0_Pd.uses_vcc, 1
	.set _Z13calc_residualdPKdS0_S0_S0_Pd.uses_flat_scratch, 0
	.set _Z13calc_residualdPKdS0_S0_S0_Pd.has_dyn_sized_stack, 0
	.set _Z13calc_residualdPKdS0_S0_S0_Pd.has_recursion, 0
	.set _Z13calc_residualdPKdS0_S0_S0_Pd.has_indirect_call, 0
	.section	.AMDGPU.csdata,"",@progbits
; Kernel info:
; codeLenInByte = 1560
; TotalNumSgprs: 20
; NumVgprs: 33
; ScratchSize: 0
; MemoryBound: 0
; FloatMode: 240
; IeeeMode: 1
; LDSByteSize: 1024 bytes/workgroup (compile time only)
; SGPRBlocks: 2
; VGPRBlocks: 8
; NumSGPRsForWavesPerEU: 20
; NumVGPRsForWavesPerEU: 33
; Occupancy: 7
; WaveLimiterHint : 0
; COMPUTE_PGM_RSRC2:SCRATCH_EN: 0
; COMPUTE_PGM_RSRC2:USER_SGPR: 6
; COMPUTE_PGM_RSRC2:TRAP_HANDLER: 0
; COMPUTE_PGM_RSRC2:TGID_X_EN: 1
; COMPUTE_PGM_RSRC2:TGID_Y_EN: 1
; COMPUTE_PGM_RSRC2:TGID_Z_EN: 0
; COMPUTE_PGM_RSRC2:TIDIG_COMP_CNT: 1
	.text
	.protected	_Z11calculate_udPKdS0_S0_PdS1_ ; -- Begin function _Z11calculate_udPKdS0_S0_PdS1_
	.globl	_Z11calculate_udPKdS0_S0_PdS1_
	.p2align	8
	.type	_Z11calculate_udPKdS0_S0_PdS1_,@function
_Z11calculate_udPKdS0_S0_PdS1_:         ; @_Z11calculate_udPKdS0_S0_PdS1_
; %bb.0:
	s_load_dword s2, s[4:5], 0x3c
	s_load_dwordx2 s[0:1], s[4:5], 0x20
	s_load_dword s16, s[4:5], 0x34
                                        ; implicit-def: $vgpr5_vgpr6
	s_waitcnt lgkmcnt(0)
	s_lshr_b32 s3, s2, 16
	s_and_b32 s2, s2, 0xffff
	s_mul_i32 s2, s6, s2
	v_add3_u32 v2, v0, s2, 1
	s_mul_i32 s2, s7, s3
	v_add_u32_e32 v4, s2, v1
	v_add_u32_e32 v7, 1, v4
	s_movk_i32 s2, 0x200
	v_cmp_ne_u32_e32 vcc, s2, v7
	v_lshlrev_b32_e32 v1, 1, v2
	s_and_saveexec_b64 s[2:3], vcc
	s_xor_b64 s[2:3], exec, s[2:3]
	s_cbranch_execz .LBB9_4
; %bb.1:
	s_movk_i32 s17, 0x102
	v_mad_u64_u32 v[5:6], s[18:19], v7, s17, v[2:3]
	s_load_dwordx8 s[8:15], s[4:5], 0x0
	v_mul_lo_u32 v10, v4, s17
	v_ashrrev_i32_e32 v6, 31, v5
	v_lshlrev_b64 v[5:6], 3, v[5:6]
	s_movk_i32 s17, 0x204
	v_add3_u32 v10, v2, v10, s17
	s_waitcnt lgkmcnt(0)
	v_mov_b32_e32 v3, s13
	v_add_co_u32_e32 v8, vcc, s12, v5
	v_ashrrev_i32_e32 v11, 31, v10
	s_movk_i32 s17, 0x202
	v_addc_co_u32_e32 v9, vcc, v3, v6, vcc
	v_lshlrev_b64 v[10:11], 3, v[10:11]
	v_mul_lo_u32 v3, v7, s17
	v_mov_b32_e32 v13, s15
	v_add_co_u32_e32 v12, vcc, s14, v10
	v_and_b32_e32 v7, 1, v7
	v_addc_co_u32_e32 v13, vcc, v13, v11, vcc
	v_sub_u32_e32 v7, v1, v7
	v_add_u32_e32 v14, v7, v3
	v_mov_b32_e32 v7, s15
	v_add_co_u32_e32 v5, vcc, s14, v5
	v_and_b32_e32 v4, 1, v4
	v_ashrrev_i32_e32 v15, 31, v14
	v_addc_co_u32_e32 v6, vcc, v7, v6, vcc
	v_sub_u32_e32 v1, v1, v4
	v_lshlrev_b64 v[14:15], 3, v[14:15]
	v_mov_b32_e32 v7, s13
	v_add_co_u32_e32 v10, vcc, s12, v10
	v_add_u32_e32 v18, v1, v3
	v_addc_co_u32_e32 v11, vcc, v7, v11, vcc
	v_ashrrev_i32_e32 v19, 31, v18
	v_mov_b32_e32 v7, s11
	v_add_co_u32_e32 v16, vcc, s10, v14
	v_lshlrev_b64 v[18:19], 3, v[18:19]
	v_addc_co_u32_e32 v17, vcc, v7, v15, vcc
	v_mov_b32_e32 v1, s11
	v_add_co_u32_e32 v20, vcc, s10, v18
	v_addc_co_u32_e32 v21, vcc, v1, v19, vcc
	global_load_dwordx2 v[22:23], v[8:9], off
	global_load_dwordx2 v[24:25], v[12:13], off
	;; [unrolled: 1-line block ×6, first 2 shown]
	v_mov_b32_e32 v1, s1
	v_add_co_u32_e32 v9, vcc, s0, v14
	v_addc_co_u32_e32 v10, vcc, v1, v15, vcc
	v_mov_b32_e32 v11, s1
	s_waitcnt vmcnt(4)
	v_add_f64 v[4:5], v[24:25], -v[22:23]
	s_waitcnt vmcnt(2)
	v_add_f64 v[6:7], v[28:29], -v[26:27]
	v_mul_f64 v[4:5], s[8:9], v[4:5]
	v_mul_f64 v[6:7], s[8:9], v[6:7]
	s_mov_b32 s8, 0
	s_mov_b32 s9, -4.0
	s_waitcnt vmcnt(1)
	v_fma_f64 v[4:5], v[4:5], s[8:9], v[30:31]
	s_waitcnt vmcnt(0)
	v_fma_f64 v[7:8], v[6:7], s[8:9], v[32:33]
	s_movk_i32 s8, 0x100
	global_store_dwordx2 v[9:10], v[4:5], off
	v_add_co_u32_e32 v9, vcc, s0, v18
	v_max_f64 v[5:6], |v[4:5]|, |v[7:8]|
	v_addc_co_u32_e32 v10, vcc, v11, v19, vcc
	v_cmp_eq_u32_e32 vcc, s8, v2
	global_store_dwordx2 v[9:10], v[7:8], off
	s_and_saveexec_b64 s[8:9], vcc
	s_cbranch_execz .LBB9_3
; %bb.2:
	v_ashrrev_i32_e32 v4, 31, v3
	v_lshlrev_b64 v[1:2], 3, v[3:4]
	v_mov_b32_e32 v3, s1
	v_add_co_u32_e32 v1, vcc, s0, v1
	v_addc_co_u32_e32 v2, vcc, v3, v2, vcc
	v_add_co_u32_e32 v1, vcc, 0x1000, v1
	v_addc_co_u32_e32 v2, vcc, 0, v2, vcc
	global_load_dwordx2 v[1:2], v[1:2], off offset:8
	v_max_f64 v[3:4], v[5:6], v[5:6]
	s_waitcnt vmcnt(0)
	v_max_f64 v[1:2], |v[1:2]|, |v[1:2]|
	v_max_f64 v[5:6], v[3:4], v[1:2]
.LBB9_3:
	s_or_b64 exec, exec, s[8:9]
                                        ; implicit-def: $vgpr1
.LBB9_4:
	s_andn2_saveexec_b64 s[2:3], s[2:3]
	s_cbranch_execz .LBB9_6
; %bb.5:
	v_ashrrev_i32_e32 v2, 31, v1
	v_lshlrev_b64 v[1:2], 3, v[1:2]
	v_mov_b32_e32 v3, s1
	v_add_co_u32_e32 v9, vcc, s0, v1
	v_addc_co_u32_e32 v10, vcc, v3, v2, vcc
	v_add_co_u32_e32 v11, vcc, 0x201000, v9
	v_addc_co_u32_e32 v12, vcc, 0, v10, vcc
	global_load_dwordx4 v[1:4], v[11:12], off offset:4088
	global_load_dwordx4 v[5:8], v[9:10], off offset:-8
	v_add_co_u32_e32 v9, vcc, 0x203000, v9
	v_addc_co_u32_e32 v10, vcc, 0, v10, vcc
	global_load_dwordx4 v[9:12], v[9:10], off offset:8
	s_waitcnt vmcnt(2)
	v_max_f64 v[3:4], |v[3:4]|, |v[3:4]|
	s_waitcnt vmcnt(1)
	v_max_f64 v[7:8], |v[7:8]|, |v[7:8]|
	v_max_f64 v[1:2], |v[1:2]|, |v[1:2]|
	;; [unrolled: 1-line block ×3, first 2 shown]
	v_max_f64 v[3:4], v[3:4], v[7:8]
	v_max_f64 v[1:2], v[1:2], v[3:4]
	s_waitcnt vmcnt(0)
	v_max_f64 v[3:4], |v[11:12]|, |v[11:12]|
	v_max_f64 v[1:2], v[5:6], v[1:2]
	v_max_f64 v[1:2], v[3:4], v[1:2]
	v_max_f64 v[3:4], |v[9:10]|, |v[9:10]|
	v_max_f64 v[5:6], v[3:4], v[1:2]
.LBB9_6:
	s_or_b64 exec, exec, s[2:3]
	v_lshlrev_b32_e32 v1, 3, v0
	v_cmp_gt_u32_e32 vcc, 64, v0
	ds_write_b64 v1, v[5:6]
	s_waitcnt vmcnt(0) lgkmcnt(0)
	s_barrier
	s_and_saveexec_b64 s[0:1], vcc
	s_cbranch_execz .LBB9_8
; %bb.7:
	ds_read2st64_b64 v[2:5], v1 offset1:1
	s_waitcnt lgkmcnt(0)
	v_max_f64 v[4:5], v[4:5], v[4:5]
	v_max_f64 v[2:3], v[2:3], v[2:3]
	;; [unrolled: 1-line block ×3, first 2 shown]
	ds_write_b64 v1, v[2:3]
.LBB9_8:
	s_or_b64 exec, exec, s[0:1]
	v_cmp_gt_u32_e32 vcc, 32, v0
	s_waitcnt lgkmcnt(0)
	s_barrier
	s_and_saveexec_b64 s[0:1], vcc
	s_cbranch_execz .LBB9_10
; %bb.9:
	ds_read2_b64 v[2:5], v1 offset1:32
	s_waitcnt lgkmcnt(0)
	v_max_f64 v[4:5], v[4:5], v[4:5]
	v_max_f64 v[2:3], v[2:3], v[2:3]
	v_max_f64 v[2:3], v[2:3], v[4:5]
	ds_write_b64 v1, v[2:3]
.LBB9_10:
	s_or_b64 exec, exec, s[0:1]
	v_cmp_gt_u32_e32 vcc, 16, v0
	s_waitcnt lgkmcnt(0)
	s_barrier
	s_and_saveexec_b64 s[0:1], vcc
	s_cbranch_execz .LBB9_12
; %bb.11:
	ds_read2_b64 v[2:5], v1 offset1:16
	s_waitcnt lgkmcnt(0)
	v_max_f64 v[4:5], v[4:5], v[4:5]
	v_max_f64 v[2:3], v[2:3], v[2:3]
	v_max_f64 v[2:3], v[2:3], v[4:5]
	ds_write_b64 v1, v[2:3]
.LBB9_12:
	s_or_b64 exec, exec, s[0:1]
	v_cmp_gt_u32_e32 vcc, 8, v0
	s_waitcnt lgkmcnt(0)
	s_barrier
	s_and_saveexec_b64 s[0:1], vcc
	s_cbranch_execz .LBB9_14
; %bb.13:
	ds_read2_b64 v[2:5], v1 offset1:8
	s_waitcnt lgkmcnt(0)
	v_max_f64 v[4:5], v[4:5], v[4:5]
	v_max_f64 v[2:3], v[2:3], v[2:3]
	v_max_f64 v[2:3], v[2:3], v[4:5]
	ds_write_b64 v1, v[2:3]
.LBB9_14:
	s_or_b64 exec, exec, s[0:1]
	v_cmp_gt_u32_e32 vcc, 4, v0
	s_waitcnt lgkmcnt(0)
	s_barrier
	s_and_saveexec_b64 s[0:1], vcc
	s_cbranch_execz .LBB9_16
; %bb.15:
	ds_read2_b64 v[2:5], v1 offset1:4
	s_waitcnt lgkmcnt(0)
	v_max_f64 v[4:5], v[4:5], v[4:5]
	v_max_f64 v[2:3], v[2:3], v[2:3]
	v_max_f64 v[2:3], v[2:3], v[4:5]
	ds_write_b64 v1, v[2:3]
.LBB9_16:
	s_or_b64 exec, exec, s[0:1]
	v_cmp_gt_u32_e32 vcc, 2, v0
	s_waitcnt lgkmcnt(0)
	s_barrier
	s_and_saveexec_b64 s[0:1], vcc
	s_cbranch_execz .LBB9_18
; %bb.17:
	ds_read2_b64 v[2:5], v1 offset1:2
	s_waitcnt lgkmcnt(0)
	v_max_f64 v[4:5], v[4:5], v[4:5]
	v_max_f64 v[2:3], v[2:3], v[2:3]
	v_max_f64 v[2:3], v[2:3], v[4:5]
	ds_write_b64 v1, v[2:3]
.LBB9_18:
	s_or_b64 exec, exec, s[0:1]
	v_cmp_eq_u32_e32 vcc, 0, v0
	s_waitcnt lgkmcnt(0)
	s_barrier
	s_and_saveexec_b64 s[0:1], vcc
	s_cbranch_execz .LBB9_20
; %bb.19:
	ds_read2_b64 v[2:5], v1 offset1:1
	s_waitcnt lgkmcnt(0)
	v_max_f64 v[4:5], v[4:5], v[4:5]
	v_max_f64 v[2:3], v[2:3], v[2:3]
	;; [unrolled: 1-line block ×3, first 2 shown]
	ds_write_b64 v1, v[2:3]
.LBB9_20:
	s_or_b64 exec, exec, s[0:1]
	s_waitcnt lgkmcnt(0)
	s_barrier
	s_and_saveexec_b64 s[0:1], vcc
	s_cbranch_execz .LBB9_22
; %bb.21:
	s_load_dwordx2 s[0:1], s[4:5], 0x28
	v_mov_b32_e32 v2, 0
	s_mul_i32 s2, s16, s6
	ds_read_b64 v[0:1], v2
	s_add_i32 s2, s2, s7
	s_mov_b32 s3, 0
	s_lshl_b64 s[2:3], s[2:3], 3
	s_waitcnt lgkmcnt(0)
	s_add_u32 s0, s0, s2
	s_addc_u32 s1, s1, s3
	global_store_dwordx2 v2, v[0:1], s[0:1]
.LBB9_22:
	s_endpgm
	.section	.rodata,"a",@progbits
	.p2align	6, 0x0
	.amdhsa_kernel _Z11calculate_udPKdS0_S0_PdS1_
		.amdhsa_group_segment_fixed_size 1024
		.amdhsa_private_segment_fixed_size 0
		.amdhsa_kernarg_size 304
		.amdhsa_user_sgpr_count 6
		.amdhsa_user_sgpr_private_segment_buffer 1
		.amdhsa_user_sgpr_dispatch_ptr 0
		.amdhsa_user_sgpr_queue_ptr 0
		.amdhsa_user_sgpr_kernarg_segment_ptr 1
		.amdhsa_user_sgpr_dispatch_id 0
		.amdhsa_user_sgpr_flat_scratch_init 0
		.amdhsa_user_sgpr_private_segment_size 0
		.amdhsa_uses_dynamic_stack 0
		.amdhsa_system_sgpr_private_segment_wavefront_offset 0
		.amdhsa_system_sgpr_workgroup_id_x 1
		.amdhsa_system_sgpr_workgroup_id_y 1
		.amdhsa_system_sgpr_workgroup_id_z 0
		.amdhsa_system_sgpr_workgroup_info 0
		.amdhsa_system_vgpr_workitem_id 1
		.amdhsa_next_free_vgpr 34
		.amdhsa_next_free_sgpr 20
		.amdhsa_reserve_vcc 1
		.amdhsa_reserve_flat_scratch 0
		.amdhsa_float_round_mode_32 0
		.amdhsa_float_round_mode_16_64 0
		.amdhsa_float_denorm_mode_32 3
		.amdhsa_float_denorm_mode_16_64 3
		.amdhsa_dx10_clamp 1
		.amdhsa_ieee_mode 1
		.amdhsa_fp16_overflow 0
		.amdhsa_exception_fp_ieee_invalid_op 0
		.amdhsa_exception_fp_denorm_src 0
		.amdhsa_exception_fp_ieee_div_zero 0
		.amdhsa_exception_fp_ieee_overflow 0
		.amdhsa_exception_fp_ieee_underflow 0
		.amdhsa_exception_fp_ieee_inexact 0
		.amdhsa_exception_int_div_zero 0
	.end_amdhsa_kernel
	.text
.Lfunc_end9:
	.size	_Z11calculate_udPKdS0_S0_PdS1_, .Lfunc_end9-_Z11calculate_udPKdS0_S0_PdS1_
                                        ; -- End function
	.set _Z11calculate_udPKdS0_S0_PdS1_.num_vgpr, 34
	.set _Z11calculate_udPKdS0_S0_PdS1_.num_agpr, 0
	.set _Z11calculate_udPKdS0_S0_PdS1_.numbered_sgpr, 20
	.set _Z11calculate_udPKdS0_S0_PdS1_.num_named_barrier, 0
	.set _Z11calculate_udPKdS0_S0_PdS1_.private_seg_size, 0
	.set _Z11calculate_udPKdS0_S0_PdS1_.uses_vcc, 1
	.set _Z11calculate_udPKdS0_S0_PdS1_.uses_flat_scratch, 0
	.set _Z11calculate_udPKdS0_S0_PdS1_.has_dyn_sized_stack, 0
	.set _Z11calculate_udPKdS0_S0_PdS1_.has_recursion, 0
	.set _Z11calculate_udPKdS0_S0_PdS1_.has_indirect_call, 0
	.section	.AMDGPU.csdata,"",@progbits
; Kernel info:
; codeLenInByte = 1296
; TotalNumSgprs: 24
; NumVgprs: 34
; ScratchSize: 0
; MemoryBound: 0
; FloatMode: 240
; IeeeMode: 1
; LDSByteSize: 1024 bytes/workgroup (compile time only)
; SGPRBlocks: 2
; VGPRBlocks: 8
; NumSGPRsForWavesPerEU: 24
; NumVGPRsForWavesPerEU: 34
; Occupancy: 7
; WaveLimiterHint : 1
; COMPUTE_PGM_RSRC2:SCRATCH_EN: 0
; COMPUTE_PGM_RSRC2:USER_SGPR: 6
; COMPUTE_PGM_RSRC2:TRAP_HANDLER: 0
; COMPUTE_PGM_RSRC2:TGID_X_EN: 1
; COMPUTE_PGM_RSRC2:TGID_Y_EN: 1
; COMPUTE_PGM_RSRC2:TGID_Z_EN: 0
; COMPUTE_PGM_RSRC2:TIDIG_COMP_CNT: 1
	.text
	.protected	_Z11calculate_vdPKdS0_S0_PdS1_ ; -- Begin function _Z11calculate_vdPKdS0_S0_PdS1_
	.globl	_Z11calculate_vdPKdS0_S0_PdS1_
	.p2align	8
	.type	_Z11calculate_vdPKdS0_S0_PdS1_,@function
_Z11calculate_vdPKdS0_S0_PdS1_:         ; @_Z11calculate_vdPKdS0_S0_PdS1_
; %bb.0:
	s_load_dword s2, s[4:5], 0x3c
	s_load_dwordx2 s[0:1], s[4:5], 0x20
	s_load_dword s18, s[4:5], 0x34
	s_load_dwordx8 s[8:15], s[4:5], 0x0
                                        ; implicit-def: $vgpr3_vgpr4
	s_waitcnt lgkmcnt(0)
	s_lshr_b32 s3, s2, 16
	s_and_b32 s2, s2, 0xffff
	s_mul_i32 s2, s6, s2
	v_add3_u32 v2, v0, s2, 1
	s_mul_i32 s2, s7, s3
	v_add_u32_e32 v1, s2, v1
	s_movk_i32 s2, 0x100
	v_add_u32_e32 v5, 1, v1
	v_cmp_ne_u32_e32 vcc, s2, v2
	v_and_b32_e32 v6, 1, v1
	s_and_saveexec_b64 s[2:3], vcc
	s_xor_b64 s[2:3], exec, s[2:3]
	s_cbranch_execz .LBB10_4
; %bb.1:
	s_movk_i32 s16, 0x102
	v_mad_u64_u32 v[3:4], s[16:17], v5, s16, v[2:3]
	v_mov_b32_e32 v1, s13
	v_mov_b32_e32 v15, s15
	v_ashrrev_i32_e32 v4, 31, v3
	v_lshlrev_b64 v[7:8], 3, v[3:4]
	v_add_u32_e32 v11, v3, v6
	v_ashrrev_i32_e32 v12, 31, v11
	v_add_co_u32_e32 v9, vcc, s12, v7
	v_lshlrev_b64 v[11:12], 3, v[11:12]
	v_addc_co_u32_e32 v10, vcc, v1, v8, vcc
	v_mov_b32_e32 v1, s15
	v_add_co_u32_e32 v11, vcc, s14, v11
	v_addc_co_u32_e32 v12, vcc, v1, v12, vcc
	v_lshlrev_b32_e32 v1, 1, v2
	v_and_b32_e32 v2, 1, v5
	v_sub_u32_e32 v13, v1, v2
	v_add_u32_e32 v2, v3, v2
	v_ashrrev_i32_e32 v3, 31, v2
	v_add_co_u32_e32 v7, vcc, s14, v7
	v_lshlrev_b64 v[2:3], 3, v[2:3]
	v_addc_co_u32_e32 v8, vcc, v15, v8, vcc
	v_mov_b32_e32 v15, s13
	v_add_co_u32_e32 v2, vcc, s12, v2
	v_addc_co_u32_e32 v3, vcc, v15, v3, vcc
	global_load_dwordx2 v[9:10], v[9:10], off
	s_movk_i32 s16, 0x202
	global_load_dwordx2 v[11:12], v[11:12], off
	v_mul_lo_u32 v4, v5, s16
	global_load_dwordx2 v[7:8], v[7:8], off
	v_sub_u32_e32 v6, v1, v6
	global_load_dwordx2 v[2:3], v[2:3], off
	v_add_u32_e32 v13, v13, v4
	v_ashrrev_i32_e32 v14, 31, v13
	v_lshlrev_b64 v[13:14], 3, v[13:14]
	v_add_u32_e32 v17, v6, v4
	v_ashrrev_i32_e32 v18, 31, v17
	v_mov_b32_e32 v16, s11
	v_add_co_u32_e32 v15, vcc, s10, v13
	v_lshlrev_b64 v[17:18], 3, v[17:18]
	v_addc_co_u32_e32 v16, vcc, v16, v14, vcc
	v_mov_b32_e32 v4, s11
	v_add_co_u32_e32 v19, vcc, s10, v17
	v_addc_co_u32_e32 v20, vcc, v4, v18, vcc
	global_load_dwordx2 v[15:16], v[15:16], off
	s_mov_b32 s16, 0
	global_load_dwordx2 v[19:20], v[19:20], off
	s_mov_b32 s17, -4.0
	s_waitcnt vmcnt(4)
	v_add_f64 v[9:10], v[11:12], -v[9:10]
	s_waitcnt vmcnt(2)
	v_add_f64 v[2:3], v[2:3], -v[7:8]
	v_mul_f64 v[6:7], s[8:9], v[9:10]
	v_mov_b32_e32 v10, s1
	v_mul_f64 v[2:3], s[8:9], v[2:3]
	s_waitcnt vmcnt(1)
	v_fma_f64 v[6:7], v[6:7], s[16:17], v[15:16]
	s_waitcnt vmcnt(0)
	v_fma_f64 v[8:9], v[2:3], s[16:17], v[19:20]
	v_mov_b32_e32 v3, s1
	v_add_co_u32_e32 v2, vcc, s0, v13
	v_addc_co_u32_e32 v3, vcc, v3, v14, vcc
	global_store_dwordx2 v[2:3], v[6:7], off
	s_movk_i32 s16, 0x200
	v_max_f64 v[3:4], |v[6:7]|, |v[8:9]|
	v_add_co_u32_e32 v6, vcc, s0, v17
	v_addc_co_u32_e32 v7, vcc, v10, v18, vcc
	v_cmp_eq_u32_e32 vcc, s16, v5
	global_store_dwordx2 v[6:7], v[8:9], off
	s_and_saveexec_b64 s[16:17], vcc
	s_cbranch_execz .LBB10_3
; %bb.2:
	v_ashrrev_i32_e32 v2, 31, v1
	v_lshlrev_b64 v[1:2], 3, v[1:2]
	v_mov_b32_e32 v5, s1
	v_add_co_u32_e32 v1, vcc, s0, v1
	v_addc_co_u32_e32 v2, vcc, v5, v2, vcc
	v_add_co_u32_e32 v1, vcc, 0x203000, v1
	v_addc_co_u32_e32 v2, vcc, 0, v2, vcc
	global_load_dwordx2 v[1:2], v[1:2], off offset:16
	v_max_f64 v[3:4], v[3:4], v[3:4]
	s_waitcnt vmcnt(0)
	v_max_f64 v[1:2], |v[1:2]|, |v[1:2]|
	v_max_f64 v[3:4], v[3:4], v[1:2]
.LBB10_3:
	s_or_b64 exec, exec, s[16:17]
                                        ; implicit-def: $vgpr6
                                        ; implicit-def: $vgpr5
.LBB10_4:
	s_andn2_saveexec_b64 s[2:3], s[2:3]
	s_cbranch_execz .LBB10_6
; %bb.5:
	s_movk_i32 s16, 0x102
	v_mul_lo_u32 v1, v5, s16
	s_movk_i32 s16, 0x202
	v_cmp_eq_u32_e32 vcc, 0, v6
	v_mov_b32_e32 v8, s14
	v_ashrrev_i32_e32 v2, 31, v1
	v_mov_b32_e32 v9, s12
	v_lshlrev_b64 v[1:2], 3, v[1:2]
	v_mul_lo_u32 v3, v5, s16
	v_mov_b32_e32 v5, s15
	v_mov_b32_e32 v7, s13
	v_cndmask_b32_e32 v11, v8, v9, vcc
	v_cndmask_b32_e32 v6, v5, v7, vcc
	;; [unrolled: 1-line block ×4, first 2 shown]
	v_add_co_u32_e32 v5, vcc, v11, v1
	v_addc_co_u32_e32 v6, vcc, v6, v2, vcc
	v_add_co_u32_e32 v1, vcc, v8, v1
	v_addc_co_u32_e32 v2, vcc, v7, v2, vcc
	global_load_dwordx2 v[5:6], v[5:6], off offset:2048
	v_ashrrev_i32_e32 v4, 31, v3
	global_load_dwordx2 v[7:8], v[1:2], off offset:2048
	v_lshlrev_b64 v[3:4], 3, v[3:4]
	v_mov_b32_e32 v10, s11
	v_add_co_u32_e32 v9, vcc, s10, v3
	v_addc_co_u32_e32 v10, vcc, v10, v4, vcc
	v_mov_b32_e32 v1, s1
	v_add_co_u32_e32 v11, vcc, s0, v3
	v_addc_co_u32_e32 v12, vcc, v1, v4, vcc
	v_add_co_u32_e32 v13, vcc, 0x1000, v11
	v_addc_co_u32_e32 v14, vcc, 0, v12, vcc
	global_load_dwordx4 v[1:4], v[13:14], off
	global_load_dwordx2 v[15:16], v[9:10], off offset:4088
	global_load_dwordx2 v[17:18], v[11:12], off
	s_mov_b32 s0, 0
	s_mov_b32 s1, -4.0
	s_waitcnt vmcnt(3)
	v_add_f64 v[5:6], v[7:8], -v[5:6]
	v_mul_f64 v[5:6], s[8:9], v[5:6]
	s_waitcnt vmcnt(2)
	v_max_f64 v[1:2], |v[1:2]|, |v[1:2]|
	v_max_f64 v[3:4], |v[3:4]|, |v[3:4]|
	s_waitcnt vmcnt(1)
	v_fma_f64 v[5:6], v[5:6], s[0:1], v[15:16]
	s_waitcnt vmcnt(0)
	v_max_f64 v[7:8], |v[17:18]|, |v[17:18]|
	v_max_f64 v[1:2], v[1:2], |v[5:6]|
	global_store_dwordx2 v[11:12], v[5:6], off offset:4088
	v_max_f64 v[1:2], v[7:8], v[1:2]
	v_max_f64 v[3:4], v[3:4], v[1:2]
.LBB10_6:
	s_or_b64 exec, exec, s[2:3]
	v_lshlrev_b32_e32 v1, 3, v0
	v_cmp_gt_u32_e32 vcc, 64, v0
	ds_write_b64 v1, v[3:4]
	s_waitcnt vmcnt(0) lgkmcnt(0)
	s_barrier
	s_and_saveexec_b64 s[0:1], vcc
	s_cbranch_execz .LBB10_8
; %bb.7:
	ds_read2st64_b64 v[2:5], v1 offset1:1
	s_waitcnt lgkmcnt(0)
	v_max_f64 v[4:5], v[4:5], v[4:5]
	v_max_f64 v[2:3], v[2:3], v[2:3]
	v_max_f64 v[2:3], v[2:3], v[4:5]
	ds_write_b64 v1, v[2:3]
.LBB10_8:
	s_or_b64 exec, exec, s[0:1]
	v_cmp_gt_u32_e32 vcc, 32, v0
	s_waitcnt lgkmcnt(0)
	s_barrier
	s_and_saveexec_b64 s[0:1], vcc
	s_cbranch_execz .LBB10_10
; %bb.9:
	ds_read2_b64 v[2:5], v1 offset1:32
	s_waitcnt lgkmcnt(0)
	v_max_f64 v[4:5], v[4:5], v[4:5]
	v_max_f64 v[2:3], v[2:3], v[2:3]
	v_max_f64 v[2:3], v[2:3], v[4:5]
	ds_write_b64 v1, v[2:3]
.LBB10_10:
	s_or_b64 exec, exec, s[0:1]
	v_cmp_gt_u32_e32 vcc, 16, v0
	s_waitcnt lgkmcnt(0)
	s_barrier
	s_and_saveexec_b64 s[0:1], vcc
	s_cbranch_execz .LBB10_12
; %bb.11:
	ds_read2_b64 v[2:5], v1 offset1:16
	s_waitcnt lgkmcnt(0)
	v_max_f64 v[4:5], v[4:5], v[4:5]
	v_max_f64 v[2:3], v[2:3], v[2:3]
	v_max_f64 v[2:3], v[2:3], v[4:5]
	ds_write_b64 v1, v[2:3]
.LBB10_12:
	;; [unrolled: 14-line block ×5, first 2 shown]
	s_or_b64 exec, exec, s[0:1]
	v_cmp_eq_u32_e32 vcc, 0, v0
	s_waitcnt lgkmcnt(0)
	s_barrier
	s_and_saveexec_b64 s[0:1], vcc
	s_cbranch_execz .LBB10_20
; %bb.19:
	ds_read2_b64 v[2:5], v1 offset1:1
	s_waitcnt lgkmcnt(0)
	v_max_f64 v[4:5], v[4:5], v[4:5]
	v_max_f64 v[2:3], v[2:3], v[2:3]
	;; [unrolled: 1-line block ×3, first 2 shown]
	ds_write_b64 v1, v[2:3]
.LBB10_20:
	s_or_b64 exec, exec, s[0:1]
	s_waitcnt lgkmcnt(0)
	s_barrier
	s_and_saveexec_b64 s[0:1], vcc
	s_cbranch_execz .LBB10_22
; %bb.21:
	s_load_dwordx2 s[0:1], s[4:5], 0x28
	v_mov_b32_e32 v2, 0
	s_mul_i32 s2, s18, s6
	ds_read_b64 v[0:1], v2
	s_add_i32 s2, s2, s7
	s_mov_b32 s3, 0
	s_lshl_b64 s[2:3], s[2:3], 3
	s_waitcnt lgkmcnt(0)
	s_add_u32 s0, s0, s2
	s_addc_u32 s1, s1, s3
	global_store_dwordx2 v2, v[0:1], s[0:1]
.LBB10_22:
	s_endpgm
	.section	.rodata,"a",@progbits
	.p2align	6, 0x0
	.amdhsa_kernel _Z11calculate_vdPKdS0_S0_PdS1_
		.amdhsa_group_segment_fixed_size 1024
		.amdhsa_private_segment_fixed_size 0
		.amdhsa_kernarg_size 304
		.amdhsa_user_sgpr_count 6
		.amdhsa_user_sgpr_private_segment_buffer 1
		.amdhsa_user_sgpr_dispatch_ptr 0
		.amdhsa_user_sgpr_queue_ptr 0
		.amdhsa_user_sgpr_kernarg_segment_ptr 1
		.amdhsa_user_sgpr_dispatch_id 0
		.amdhsa_user_sgpr_flat_scratch_init 0
		.amdhsa_user_sgpr_private_segment_size 0
		.amdhsa_uses_dynamic_stack 0
		.amdhsa_system_sgpr_private_segment_wavefront_offset 0
		.amdhsa_system_sgpr_workgroup_id_x 1
		.amdhsa_system_sgpr_workgroup_id_y 1
		.amdhsa_system_sgpr_workgroup_id_z 0
		.amdhsa_system_sgpr_workgroup_info 0
		.amdhsa_system_vgpr_workitem_id 1
		.amdhsa_next_free_vgpr 21
		.amdhsa_next_free_sgpr 19
		.amdhsa_reserve_vcc 1
		.amdhsa_reserve_flat_scratch 0
		.amdhsa_float_round_mode_32 0
		.amdhsa_float_round_mode_16_64 0
		.amdhsa_float_denorm_mode_32 3
		.amdhsa_float_denorm_mode_16_64 3
		.amdhsa_dx10_clamp 1
		.amdhsa_ieee_mode 1
		.amdhsa_fp16_overflow 0
		.amdhsa_exception_fp_ieee_invalid_op 0
		.amdhsa_exception_fp_denorm_src 0
		.amdhsa_exception_fp_ieee_div_zero 0
		.amdhsa_exception_fp_ieee_overflow 0
		.amdhsa_exception_fp_ieee_underflow 0
		.amdhsa_exception_fp_ieee_inexact 0
		.amdhsa_exception_int_div_zero 0
	.end_amdhsa_kernel
	.text
.Lfunc_end10:
	.size	_Z11calculate_vdPKdS0_S0_PdS1_, .Lfunc_end10-_Z11calculate_vdPKdS0_S0_PdS1_
                                        ; -- End function
	.set _Z11calculate_vdPKdS0_S0_PdS1_.num_vgpr, 21
	.set _Z11calculate_vdPKdS0_S0_PdS1_.num_agpr, 0
	.set _Z11calculate_vdPKdS0_S0_PdS1_.numbered_sgpr, 19
	.set _Z11calculate_vdPKdS0_S0_PdS1_.num_named_barrier, 0
	.set _Z11calculate_vdPKdS0_S0_PdS1_.private_seg_size, 0
	.set _Z11calculate_vdPKdS0_S0_PdS1_.uses_vcc, 1
	.set _Z11calculate_vdPKdS0_S0_PdS1_.uses_flat_scratch, 0
	.set _Z11calculate_vdPKdS0_S0_PdS1_.has_dyn_sized_stack, 0
	.set _Z11calculate_vdPKdS0_S0_PdS1_.has_recursion, 0
	.set _Z11calculate_vdPKdS0_S0_PdS1_.has_indirect_call, 0
	.section	.AMDGPU.csdata,"",@progbits
; Kernel info:
; codeLenInByte = 1400
; TotalNumSgprs: 23
; NumVgprs: 21
; ScratchSize: 0
; MemoryBound: 0
; FloatMode: 240
; IeeeMode: 1
; LDSByteSize: 1024 bytes/workgroup (compile time only)
; SGPRBlocks: 2
; VGPRBlocks: 5
; NumSGPRsForWavesPerEU: 23
; NumVGPRsForWavesPerEU: 21
; Occupancy: 10
; WaveLimiterHint : 1
; COMPUTE_PGM_RSRC2:SCRATCH_EN: 0
; COMPUTE_PGM_RSRC2:USER_SGPR: 6
; COMPUTE_PGM_RSRC2:TRAP_HANDLER: 0
; COMPUTE_PGM_RSRC2:TGID_X_EN: 1
; COMPUTE_PGM_RSRC2:TGID_Y_EN: 1
; COMPUTE_PGM_RSRC2:TGID_Z_EN: 0
; COMPUTE_PGM_RSRC2:TIDIG_COMP_CNT: 1
	.section	.AMDGPU.gpr_maximums,"",@progbits
	.set amdgpu.max_num_vgpr, 0
	.set amdgpu.max_num_agpr, 0
	.set amdgpu.max_num_sgpr, 0
	.section	.AMDGPU.csdata,"",@progbits
	.type	__hip_cuid_21fc8bb2794a7cba,@object ; @__hip_cuid_21fc8bb2794a7cba
	.section	.bss,"aw",@nobits
	.globl	__hip_cuid_21fc8bb2794a7cba
__hip_cuid_21fc8bb2794a7cba:
	.byte	0                               ; 0x0
	.size	__hip_cuid_21fc8bb2794a7cba, 1

	.ident	"AMD clang version 22.0.0git (https://github.com/RadeonOpenCompute/llvm-project roc-7.2.4 26084 f58b06dce1f9c15707c5f808fd002e18c2accf7e)"
	.section	".note.GNU-stack","",@progbits
	.addrsig
	.addrsig_sym __hip_cuid_21fc8bb2794a7cba
	.amdgpu_metadata
---
amdhsa.kernels:
  - .args:
      - .address_space:  global
        .offset:         0
        .size:           8
        .value_kind:     global_buffer
      - .address_space:  global
        .offset:         8
        .size:           8
        .value_kind:     global_buffer
      - .offset:         16
        .size:           4
        .value_kind:     hidden_block_count_x
      - .offset:         20
        .size:           4
        .value_kind:     hidden_block_count_y
      - .offset:         24
        .size:           4
        .value_kind:     hidden_block_count_z
      - .offset:         28
        .size:           2
        .value_kind:     hidden_group_size_x
      - .offset:         30
        .size:           2
        .value_kind:     hidden_group_size_y
      - .offset:         32
        .size:           2
        .value_kind:     hidden_group_size_z
      - .offset:         34
        .size:           2
        .value_kind:     hidden_remainder_x
      - .offset:         36
        .size:           2
        .value_kind:     hidden_remainder_y
      - .offset:         38
        .size:           2
        .value_kind:     hidden_remainder_z
      - .offset:         56
        .size:           8
        .value_kind:     hidden_global_offset_x
      - .offset:         64
        .size:           8
        .value_kind:     hidden_global_offset_y
      - .offset:         72
        .size:           8
        .value_kind:     hidden_global_offset_z
      - .offset:         80
        .size:           2
        .value_kind:     hidden_grid_dims
    .group_segment_fixed_size: 0
    .kernarg_segment_align: 8
    .kernarg_segment_size: 272
    .language:       OpenCL C
    .language_version:
      - 2
      - 0
    .max_flat_workgroup_size: 1024
    .name:           _Z7set_BCsPdS_
    .private_segment_fixed_size: 0
    .sgpr_count:     16
    .sgpr_spill_count: 0
    .symbol:         _Z7set_BCsPdS_.kd
    .uniform_work_group_size: 1
    .uses_dynamic_stack: false
    .vgpr_count:     21
    .vgpr_spill_count: 0
    .wavefront_size: 64
  - .args:
      - .offset:         0
        .size:           8
        .value_kind:     by_value
      - .actual_access:  read_only
        .address_space:  global
        .offset:         8
        .size:           8
        .value_kind:     global_buffer
      - .actual_access:  read_only
        .address_space:  global
        .offset:         16
        .size:           8
        .value_kind:     global_buffer
      - .actual_access:  write_only
        .address_space:  global
        .offset:         24
        .size:           8
        .value_kind:     global_buffer
      - .offset:         32
        .size:           4
        .value_kind:     hidden_block_count_x
      - .offset:         36
        .size:           4
        .value_kind:     hidden_block_count_y
      - .offset:         40
        .size:           4
        .value_kind:     hidden_block_count_z
      - .offset:         44
        .size:           2
        .value_kind:     hidden_group_size_x
      - .offset:         46
        .size:           2
        .value_kind:     hidden_group_size_y
      - .offset:         48
        .size:           2
        .value_kind:     hidden_group_size_z
      - .offset:         50
        .size:           2
        .value_kind:     hidden_remainder_x
      - .offset:         52
        .size:           2
        .value_kind:     hidden_remainder_y
      - .offset:         54
        .size:           2
        .value_kind:     hidden_remainder_z
      - .offset:         72
        .size:           8
        .value_kind:     hidden_global_offset_x
      - .offset:         80
        .size:           8
        .value_kind:     hidden_global_offset_y
      - .offset:         88
        .size:           8
        .value_kind:     hidden_global_offset_z
      - .offset:         96
        .size:           2
        .value_kind:     hidden_grid_dims
    .group_segment_fixed_size: 0
    .kernarg_segment_align: 8
    .kernarg_segment_size: 288
    .language:       OpenCL C
    .language_version:
      - 2
      - 0
    .max_flat_workgroup_size: 1024
    .name:           _Z11calculate_FdPKdS0_Pd
    .private_segment_fixed_size: 0
    .sgpr_count:     16
    .sgpr_spill_count: 0
    .symbol:         _Z11calculate_FdPKdS0_Pd.kd
    .uniform_work_group_size: 1
    .uses_dynamic_stack: false
    .vgpr_count:     26
    .vgpr_spill_count: 0
    .wavefront_size: 64
  - .args:
      - .offset:         0
        .size:           8
        .value_kind:     by_value
      - .actual_access:  read_only
        .address_space:  global
        .offset:         8
        .size:           8
        .value_kind:     global_buffer
      - .actual_access:  read_only
        .address_space:  global
        .offset:         16
        .size:           8
        .value_kind:     global_buffer
      - .actual_access:  write_only
        .address_space:  global
        .offset:         24
        .size:           8
        .value_kind:     global_buffer
      - .offset:         32
        .size:           4
        .value_kind:     hidden_block_count_x
      - .offset:         36
        .size:           4
        .value_kind:     hidden_block_count_y
      - .offset:         40
        .size:           4
        .value_kind:     hidden_block_count_z
      - .offset:         44
        .size:           2
        .value_kind:     hidden_group_size_x
      - .offset:         46
        .size:           2
        .value_kind:     hidden_group_size_y
      - .offset:         48
        .size:           2
        .value_kind:     hidden_group_size_z
      - .offset:         50
        .size:           2
        .value_kind:     hidden_remainder_x
      - .offset:         52
        .size:           2
        .value_kind:     hidden_remainder_y
      - .offset:         54
        .size:           2
        .value_kind:     hidden_remainder_z
      - .offset:         72
        .size:           8
        .value_kind:     hidden_global_offset_x
      - .offset:         80
        .size:           8
        .value_kind:     hidden_global_offset_y
      - .offset:         88
        .size:           8
        .value_kind:     hidden_global_offset_z
      - .offset:         96
        .size:           2
        .value_kind:     hidden_grid_dims
    .group_segment_fixed_size: 0
    .kernarg_segment_align: 8
    .kernarg_segment_size: 288
    .language:       OpenCL C
    .language_version:
      - 2
      - 0
    .max_flat_workgroup_size: 1024
    .name:           _Z11calculate_GdPKdS0_Pd
    .private_segment_fixed_size: 0
    .sgpr_count:     16
    .sgpr_spill_count: 0
    .symbol:         _Z11calculate_GdPKdS0_Pd.kd
    .uniform_work_group_size: 1
    .uses_dynamic_stack: false
    .vgpr_count:     25
    .vgpr_spill_count: 0
    .wavefront_size: 64
  - .args:
      - .actual_access:  read_only
        .address_space:  global
        .offset:         0
        .size:           8
        .value_kind:     global_buffer
      - .actual_access:  read_only
        .address_space:  global
        .offset:         8
        .size:           8
        .value_kind:     global_buffer
      - .actual_access:  write_only
        .address_space:  global
        .offset:         16
        .size:           8
        .value_kind:     global_buffer
      - .offset:         24
        .size:           4
        .value_kind:     hidden_block_count_x
      - .offset:         28
        .size:           4
        .value_kind:     hidden_block_count_y
      - .offset:         32
        .size:           4
        .value_kind:     hidden_block_count_z
      - .offset:         36
        .size:           2
        .value_kind:     hidden_group_size_x
      - .offset:         38
        .size:           2
        .value_kind:     hidden_group_size_y
      - .offset:         40
        .size:           2
        .value_kind:     hidden_group_size_z
      - .offset:         42
        .size:           2
        .value_kind:     hidden_remainder_x
      - .offset:         44
        .size:           2
        .value_kind:     hidden_remainder_y
      - .offset:         46
        .size:           2
        .value_kind:     hidden_remainder_z
      - .offset:         64
        .size:           8
        .value_kind:     hidden_global_offset_x
      - .offset:         72
        .size:           8
        .value_kind:     hidden_global_offset_y
      - .offset:         80
        .size:           8
        .value_kind:     hidden_global_offset_z
      - .offset:         88
        .size:           2
        .value_kind:     hidden_grid_dims
    .group_segment_fixed_size: 1024
    .kernarg_segment_align: 8
    .kernarg_segment_size: 280
    .language:       OpenCL C
    .language_version:
      - 2
      - 0
    .max_flat_workgroup_size: 1024
    .name:           _Z12sum_pressurePKdS0_Pd
    .private_segment_fixed_size: 0
    .sgpr_count:     16
    .sgpr_spill_count: 0
    .symbol:         _Z12sum_pressurePKdS0_Pd.kd
    .uniform_work_group_size: 1
    .uses_dynamic_stack: false
    .vgpr_count:     6
    .vgpr_spill_count: 0
    .wavefront_size: 64
  - .args:
      - .address_space:  global
        .offset:         0
        .size:           8
        .value_kind:     global_buffer
      - .address_space:  global
        .offset:         8
        .size:           8
        .value_kind:     global_buffer
      - .offset:         16
        .size:           4
        .value_kind:     hidden_block_count_x
      - .offset:         20
        .size:           4
        .value_kind:     hidden_block_count_y
      - .offset:         24
        .size:           4
        .value_kind:     hidden_block_count_z
      - .offset:         28
        .size:           2
        .value_kind:     hidden_group_size_x
      - .offset:         30
        .size:           2
        .value_kind:     hidden_group_size_y
      - .offset:         32
        .size:           2
        .value_kind:     hidden_group_size_z
      - .offset:         34
        .size:           2
        .value_kind:     hidden_remainder_x
      - .offset:         36
        .size:           2
        .value_kind:     hidden_remainder_y
      - .offset:         38
        .size:           2
        .value_kind:     hidden_remainder_z
      - .offset:         56
        .size:           8
        .value_kind:     hidden_global_offset_x
      - .offset:         64
        .size:           8
        .value_kind:     hidden_global_offset_y
      - .offset:         72
        .size:           8
        .value_kind:     hidden_global_offset_z
      - .offset:         80
        .size:           2
        .value_kind:     hidden_grid_dims
    .group_segment_fixed_size: 0
    .kernarg_segment_align: 8
    .kernarg_segment_size: 272
    .language:       OpenCL C
    .language_version:
      - 2
      - 0
    .max_flat_workgroup_size: 1024
    .name:           _Z17set_horz_pres_BCsPdS_
    .private_segment_fixed_size: 0
    .sgpr_count:     12
    .sgpr_spill_count: 0
    .symbol:         _Z17set_horz_pres_BCsPdS_.kd
    .uniform_work_group_size: 1
    .uses_dynamic_stack: false
    .vgpr_count:     19
    .vgpr_spill_count: 0
    .wavefront_size: 64
  - .args:
      - .address_space:  global
        .offset:         0
        .size:           8
        .value_kind:     global_buffer
      - .address_space:  global
        .offset:         8
        .size:           8
        .value_kind:     global_buffer
      - .offset:         16
        .size:           4
        .value_kind:     hidden_block_count_x
      - .offset:         20
        .size:           4
        .value_kind:     hidden_block_count_y
      - .offset:         24
        .size:           4
        .value_kind:     hidden_block_count_z
      - .offset:         28
        .size:           2
        .value_kind:     hidden_group_size_x
      - .offset:         30
        .size:           2
        .value_kind:     hidden_group_size_y
      - .offset:         32
        .size:           2
        .value_kind:     hidden_group_size_z
      - .offset:         34
        .size:           2
        .value_kind:     hidden_remainder_x
      - .offset:         36
        .size:           2
        .value_kind:     hidden_remainder_y
      - .offset:         38
        .size:           2
        .value_kind:     hidden_remainder_z
      - .offset:         56
        .size:           8
        .value_kind:     hidden_global_offset_x
      - .offset:         64
        .size:           8
        .value_kind:     hidden_global_offset_y
      - .offset:         72
        .size:           8
        .value_kind:     hidden_global_offset_z
      - .offset:         80
        .size:           2
        .value_kind:     hidden_grid_dims
    .group_segment_fixed_size: 0
    .kernarg_segment_align: 8
    .kernarg_segment_size: 272
    .language:       OpenCL C
    .language_version:
      - 2
      - 0
    .max_flat_workgroup_size: 1024
    .name:           _Z17set_vert_pres_BCsPdS_
    .private_segment_fixed_size: 0
    .sgpr_count:     12
    .sgpr_spill_count: 0
    .symbol:         _Z17set_vert_pres_BCsPdS_.kd
    .uniform_work_group_size: 1
    .uses_dynamic_stack: false
    .vgpr_count:     18
    .vgpr_spill_count: 0
    .wavefront_size: 64
  - .args:
      - .offset:         0
        .size:           8
        .value_kind:     by_value
      - .actual_access:  read_only
        .address_space:  global
        .offset:         8
        .size:           8
        .value_kind:     global_buffer
      - .actual_access:  read_only
        .address_space:  global
        .offset:         16
        .size:           8
        .value_kind:     global_buffer
      - .actual_access:  read_only
        .address_space:  global
        .offset:         24
        .size:           8
        .value_kind:     global_buffer
      - .address_space:  global
        .offset:         32
        .size:           8
        .value_kind:     global_buffer
      - .offset:         40
        .size:           4
        .value_kind:     hidden_block_count_x
      - .offset:         44
        .size:           4
        .value_kind:     hidden_block_count_y
      - .offset:         48
        .size:           4
        .value_kind:     hidden_block_count_z
      - .offset:         52
        .size:           2
        .value_kind:     hidden_group_size_x
      - .offset:         54
        .size:           2
        .value_kind:     hidden_group_size_y
      - .offset:         56
        .size:           2
        .value_kind:     hidden_group_size_z
      - .offset:         58
        .size:           2
        .value_kind:     hidden_remainder_x
      - .offset:         60
        .size:           2
        .value_kind:     hidden_remainder_y
      - .offset:         62
        .size:           2
        .value_kind:     hidden_remainder_z
      - .offset:         80
        .size:           8
        .value_kind:     hidden_global_offset_x
      - .offset:         88
        .size:           8
        .value_kind:     hidden_global_offset_y
      - .offset:         96
        .size:           8
        .value_kind:     hidden_global_offset_z
      - .offset:         104
        .size:           2
        .value_kind:     hidden_grid_dims
    .group_segment_fixed_size: 0
    .kernarg_segment_align: 8
    .kernarg_segment_size: 296
    .language:       OpenCL C
    .language_version:
      - 2
      - 0
    .max_flat_workgroup_size: 1024
    .name:           _Z10red_kerneldPKdS0_S0_Pd
    .private_segment_fixed_size: 0
    .sgpr_count:     20
    .sgpr_spill_count: 0
    .symbol:         _Z10red_kerneldPKdS0_S0_Pd.kd
    .uniform_work_group_size: 1
    .uses_dynamic_stack: false
    .vgpr_count:     26
    .vgpr_spill_count: 0
    .wavefront_size: 64
  - .args:
      - .offset:         0
        .size:           8
        .value_kind:     by_value
      - .actual_access:  read_only
        .address_space:  global
        .offset:         8
        .size:           8
        .value_kind:     global_buffer
      - .actual_access:  read_only
        .address_space:  global
        .offset:         16
        .size:           8
        .value_kind:     global_buffer
      - .actual_access:  read_only
        .address_space:  global
        .offset:         24
        .size:           8
        .value_kind:     global_buffer
      - .address_space:  global
        .offset:         32
        .size:           8
        .value_kind:     global_buffer
      - .offset:         40
        .size:           4
        .value_kind:     hidden_block_count_x
      - .offset:         44
        .size:           4
        .value_kind:     hidden_block_count_y
      - .offset:         48
        .size:           4
        .value_kind:     hidden_block_count_z
      - .offset:         52
        .size:           2
        .value_kind:     hidden_group_size_x
      - .offset:         54
        .size:           2
        .value_kind:     hidden_group_size_y
      - .offset:         56
        .size:           2
        .value_kind:     hidden_group_size_z
      - .offset:         58
        .size:           2
        .value_kind:     hidden_remainder_x
      - .offset:         60
        .size:           2
        .value_kind:     hidden_remainder_y
      - .offset:         62
        .size:           2
        .value_kind:     hidden_remainder_z
      - .offset:         80
        .size:           8
        .value_kind:     hidden_global_offset_x
      - .offset:         88
        .size:           8
        .value_kind:     hidden_global_offset_y
      - .offset:         96
        .size:           8
        .value_kind:     hidden_global_offset_z
      - .offset:         104
        .size:           2
        .value_kind:     hidden_grid_dims
    .group_segment_fixed_size: 0
    .kernarg_segment_align: 8
    .kernarg_segment_size: 296
    .language:       OpenCL C
    .language_version:
      - 2
      - 0
    .max_flat_workgroup_size: 1024
    .name:           _Z12black_kerneldPKdS0_S0_Pd
    .private_segment_fixed_size: 0
    .sgpr_count:     20
    .sgpr_spill_count: 0
    .symbol:         _Z12black_kerneldPKdS0_S0_Pd.kd
    .uniform_work_group_size: 1
    .uses_dynamic_stack: false
    .vgpr_count:     26
    .vgpr_spill_count: 0
    .wavefront_size: 64
  - .args:
      - .offset:         0
        .size:           8
        .value_kind:     by_value
      - .actual_access:  read_only
        .address_space:  global
        .offset:         8
        .size:           8
        .value_kind:     global_buffer
      - .actual_access:  read_only
        .address_space:  global
        .offset:         16
        .size:           8
        .value_kind:     global_buffer
      - .actual_access:  read_only
        .address_space:  global
        .offset:         24
        .size:           8
        .value_kind:     global_buffer
      - .actual_access:  read_only
        .address_space:  global
        .offset:         32
        .size:           8
        .value_kind:     global_buffer
      - .actual_access:  write_only
        .address_space:  global
        .offset:         40
        .size:           8
        .value_kind:     global_buffer
      - .offset:         48
        .size:           4
        .value_kind:     hidden_block_count_x
      - .offset:         52
        .size:           4
        .value_kind:     hidden_block_count_y
      - .offset:         56
        .size:           4
        .value_kind:     hidden_block_count_z
      - .offset:         60
        .size:           2
        .value_kind:     hidden_group_size_x
      - .offset:         62
        .size:           2
        .value_kind:     hidden_group_size_y
      - .offset:         64
        .size:           2
        .value_kind:     hidden_group_size_z
      - .offset:         66
        .size:           2
        .value_kind:     hidden_remainder_x
      - .offset:         68
        .size:           2
        .value_kind:     hidden_remainder_y
      - .offset:         70
        .size:           2
        .value_kind:     hidden_remainder_z
      - .offset:         88
        .size:           8
        .value_kind:     hidden_global_offset_x
      - .offset:         96
        .size:           8
        .value_kind:     hidden_global_offset_y
      - .offset:         104
        .size:           8
        .value_kind:     hidden_global_offset_z
      - .offset:         112
        .size:           2
        .value_kind:     hidden_grid_dims
    .group_segment_fixed_size: 1024
    .kernarg_segment_align: 8
    .kernarg_segment_size: 304
    .language:       OpenCL C
    .language_version:
      - 2
      - 0
    .max_flat_workgroup_size: 1024
    .name:           _Z13calc_residualdPKdS0_S0_S0_Pd
    .private_segment_fixed_size: 0
    .sgpr_count:     20
    .sgpr_spill_count: 0
    .symbol:         _Z13calc_residualdPKdS0_S0_S0_Pd.kd
    .uniform_work_group_size: 1
    .uses_dynamic_stack: false
    .vgpr_count:     33
    .vgpr_spill_count: 0
    .wavefront_size: 64
  - .args:
      - .offset:         0
        .size:           8
        .value_kind:     by_value
      - .actual_access:  read_only
        .address_space:  global
        .offset:         8
        .size:           8
        .value_kind:     global_buffer
      - .actual_access:  read_only
        .address_space:  global
        .offset:         16
        .size:           8
        .value_kind:     global_buffer
      - .actual_access:  read_only
        .address_space:  global
        .offset:         24
        .size:           8
        .value_kind:     global_buffer
      - .address_space:  global
        .offset:         32
        .size:           8
        .value_kind:     global_buffer
      - .actual_access:  write_only
        .address_space:  global
        .offset:         40
        .size:           8
        .value_kind:     global_buffer
      - .offset:         48
        .size:           4
        .value_kind:     hidden_block_count_x
      - .offset:         52
        .size:           4
        .value_kind:     hidden_block_count_y
      - .offset:         56
        .size:           4
        .value_kind:     hidden_block_count_z
      - .offset:         60
        .size:           2
        .value_kind:     hidden_group_size_x
      - .offset:         62
        .size:           2
        .value_kind:     hidden_group_size_y
      - .offset:         64
        .size:           2
        .value_kind:     hidden_group_size_z
      - .offset:         66
        .size:           2
        .value_kind:     hidden_remainder_x
      - .offset:         68
        .size:           2
        .value_kind:     hidden_remainder_y
      - .offset:         70
        .size:           2
        .value_kind:     hidden_remainder_z
      - .offset:         88
        .size:           8
        .value_kind:     hidden_global_offset_x
      - .offset:         96
        .size:           8
        .value_kind:     hidden_global_offset_y
      - .offset:         104
        .size:           8
        .value_kind:     hidden_global_offset_z
      - .offset:         112
        .size:           2
        .value_kind:     hidden_grid_dims
    .group_segment_fixed_size: 1024
    .kernarg_segment_align: 8
    .kernarg_segment_size: 304
    .language:       OpenCL C
    .language_version:
      - 2
      - 0
    .max_flat_workgroup_size: 1024
    .name:           _Z11calculate_udPKdS0_S0_PdS1_
    .private_segment_fixed_size: 0
    .sgpr_count:     24
    .sgpr_spill_count: 0
    .symbol:         _Z11calculate_udPKdS0_S0_PdS1_.kd
    .uniform_work_group_size: 1
    .uses_dynamic_stack: false
    .vgpr_count:     34
    .vgpr_spill_count: 0
    .wavefront_size: 64
  - .args:
      - .offset:         0
        .size:           8
        .value_kind:     by_value
      - .actual_access:  read_only
        .address_space:  global
        .offset:         8
        .size:           8
        .value_kind:     global_buffer
      - .actual_access:  read_only
        .address_space:  global
        .offset:         16
        .size:           8
        .value_kind:     global_buffer
      - .actual_access:  read_only
        .address_space:  global
        .offset:         24
        .size:           8
        .value_kind:     global_buffer
      - .address_space:  global
        .offset:         32
        .size:           8
        .value_kind:     global_buffer
      - .actual_access:  write_only
        .address_space:  global
        .offset:         40
        .size:           8
        .value_kind:     global_buffer
      - .offset:         48
        .size:           4
        .value_kind:     hidden_block_count_x
      - .offset:         52
        .size:           4
        .value_kind:     hidden_block_count_y
      - .offset:         56
        .size:           4
        .value_kind:     hidden_block_count_z
      - .offset:         60
        .size:           2
        .value_kind:     hidden_group_size_x
      - .offset:         62
        .size:           2
        .value_kind:     hidden_group_size_y
      - .offset:         64
        .size:           2
        .value_kind:     hidden_group_size_z
      - .offset:         66
        .size:           2
        .value_kind:     hidden_remainder_x
      - .offset:         68
        .size:           2
        .value_kind:     hidden_remainder_y
      - .offset:         70
        .size:           2
        .value_kind:     hidden_remainder_z
      - .offset:         88
        .size:           8
        .value_kind:     hidden_global_offset_x
      - .offset:         96
        .size:           8
        .value_kind:     hidden_global_offset_y
      - .offset:         104
        .size:           8
        .value_kind:     hidden_global_offset_z
      - .offset:         112
        .size:           2
        .value_kind:     hidden_grid_dims
    .group_segment_fixed_size: 1024
    .kernarg_segment_align: 8
    .kernarg_segment_size: 304
    .language:       OpenCL C
    .language_version:
      - 2
      - 0
    .max_flat_workgroup_size: 1024
    .name:           _Z11calculate_vdPKdS0_S0_PdS1_
    .private_segment_fixed_size: 0
    .sgpr_count:     23
    .sgpr_spill_count: 0
    .symbol:         _Z11calculate_vdPKdS0_S0_PdS1_.kd
    .uniform_work_group_size: 1
    .uses_dynamic_stack: false
    .vgpr_count:     21
    .vgpr_spill_count: 0
    .wavefront_size: 64
amdhsa.target:   amdgcn-amd-amdhsa--gfx906
amdhsa.version:
  - 1
  - 2
...

	.end_amdgpu_metadata
